;; amdgpu-corpus repo=ROCm/hip-tests kind=compiled arch=gfx950 opt=O3
	.amdgcn_target "amdgcn-amd-amdhsa--gfx950"
	.amdhsa_code_object_version 6
	.section	.text._Z8vec_fillIiEvPT_S0_i,"axG",@progbits,_Z8vec_fillIiEvPT_S0_i,comdat
	.protected	_Z8vec_fillIiEvPT_S0_i  ; -- Begin function _Z8vec_fillIiEvPT_S0_i
	.globl	_Z8vec_fillIiEvPT_S0_i
	.p2align	8
	.type	_Z8vec_fillIiEvPT_S0_i,@function
_Z8vec_fillIiEvPT_S0_i:                 ; @_Z8vec_fillIiEvPT_S0_i
; %bb.0:
	s_load_dword s3, s[0:1], 0x1c
	s_load_dwordx2 s[4:5], s[0:1], 0x8
	s_add_u32 s6, s0, 16
	s_addc_u32 s7, s1, 0
	s_waitcnt lgkmcnt(0)
	s_and_b32 s10, s3, 0xffff
	s_mul_i32 s3, s2, s10
	v_add_u32_e32 v2, s3, v0
	v_cmp_gt_i32_e32 vcc, s5, v2
	s_and_saveexec_b64 s[8:9], vcc
	s_cbranch_execz .LBB0_8
; %bb.1:
	s_load_dword s11, s[6:7], 0x0
	s_load_dwordx2 s[8:9], s[0:1], 0x0
	s_waitcnt lgkmcnt(0)
	s_mul_i32 s6, s11, s10
	v_cvt_f32_u32_e32 v1, s6
	s_add_i32 s0, s2, s11
	s_mul_i32 s0, s0, s10
	s_sub_i32 s2, 0, s6
	v_rcp_iflag_f32_e32 v1, v1
	v_add_u32_e32 v3, s0, v0
	v_mov_b32_e32 v4, s0
	v_max_i32_e32 v5, s5, v3
	v_mul_f32_e32 v1, 0x4f7ffffe, v1
	v_cvt_u32_f32_e32 v1, v1
	v_cmp_gt_i32_e32 vcc, s5, v3
	v_mul_lo_u32 v3, s2, v1
	s_nop 0
	v_addc_co_u32_e64 v0, s[0:1], v0, v4, vcc
	v_mul_hi_u32 v3, v1, v3
	v_sub_u32_e32 v0, v5, v0
	v_add_u32_e32 v1, v1, v3
	v_mul_hi_u32 v1, v0, v1
	v_mul_lo_u32 v3, v1, s6
	v_sub_u32_e32 v0, v0, v3
	v_add_u32_e32 v4, 1, v1
	v_cmp_le_u32_e64 s[0:1], s6, v0
	v_subrev_u32_e32 v3, s6, v0
	s_mov_b64 s[2:3], -1
	v_cndmask_b32_e64 v1, v1, v4, s[0:1]
	v_cndmask_b32_e64 v0, v0, v3, s[0:1]
	v_add_u32_e32 v3, 1, v1
	v_cmp_le_u32_e64 s[0:1], s6, v0
	s_nop 1
	v_cndmask_b32_e64 v0, v1, v3, s[0:1]
	v_addc_co_u32_e32 v4, vcc, 1, v0, vcc
	v_cmp_lt_u32_e32 vcc, 1, v4
	s_and_saveexec_b64 s[0:1], vcc
	s_cbranch_execz .LBB0_5
; %bb.2:
	v_and_b32_e32 v5, -2, v4
	v_add_u32_e32 v3, s6, v2
	s_lshl_b32 s13, s6, 1
	s_mov_b32 s7, s4
	s_mov_b32 s12, s4
	;; [unrolled: 1-line block ×3, first 2 shown]
	s_mov_b64 s[2:3], 0
	v_mov_b32_e32 v6, v5
	v_mov_b64_e32 v[0:1], v[2:3]
.LBB0_3:                                ; =>This Inner Loop Header: Depth=1
	v_add_u32_e32 v6, -2, v6
	v_ashrrev_i32_e32 v9, 31, v1
	v_mov_b32_e32 v8, v1
	v_ashrrev_i32_e32 v11, 31, v0
	v_mov_b32_e32 v10, v0
	v_cmp_eq_u32_e32 vcc, 0, v6
	v_mul_lo_u32 v3, v1, s12
	v_mul_lo_u32 v7, v0, s7
	v_add_u32_e32 v1, s14, v1
	v_add_u32_e32 v0, s13, v0
	v_lshl_add_u64 v[10:11], v[10:11], 2, s[8:9]
	v_lshl_add_u64 v[8:9], v[8:9], 2, s[8:9]
	s_or_b64 s[2:3], vcc, s[2:3]
	global_store_dword v[10:11], v7, off
	global_store_dword v[8:9], v3, off
	s_andn2_b64 exec, exec, s[2:3]
	s_cbranch_execnz .LBB0_3
; %bb.4:
	s_or_b64 exec, exec, s[2:3]
	v_mad_u64_u32 v[2:3], s[2:3], v5, s6, v[2:3]
	v_cmp_ne_u32_e32 vcc, v4, v5
	s_orn2_b64 s[2:3], vcc, exec
.LBB0_5:
	s_or_b64 exec, exec, s[0:1]
	s_and_b64 exec, exec, s[2:3]
	s_cbranch_execz .LBB0_8
; %bb.6:
	v_ashrrev_i32_e32 v3, 31, v2
	v_lshl_add_u64 v[0:1], v[2:3], 2, s[8:9]
	s_ashr_i32 s7, s6, 31
	v_mul_lo_u32 v3, v2, s4
	s_mul_i32 s4, s11, s4
	s_lshl_b64 s[0:1], s[6:7], 2
	s_mul_i32 s4, s4, s10
	s_mov_b64 s[2:3], 0
.LBB0_7:                                ; =>This Inner Loop Header: Depth=1
	v_add_u32_e32 v2, s6, v2
	v_cmp_le_i32_e32 vcc, s5, v2
	global_store_dword v[0:1], v3, off
	v_lshl_add_u64 v[0:1], v[0:1], 0, s[0:1]
	s_or_b64 s[2:3], vcc, s[2:3]
	v_add_u32_e32 v3, s4, v3
	s_andn2_b64 exec, exec, s[2:3]
	s_cbranch_execnz .LBB0_7
.LBB0_8:
	s_endpgm
	.section	.rodata,"a",@progbits
	.p2align	6, 0x0
	.amdhsa_kernel _Z8vec_fillIiEvPT_S0_i
		.amdhsa_group_segment_fixed_size 0
		.amdhsa_private_segment_fixed_size 0
		.amdhsa_kernarg_size 272
		.amdhsa_user_sgpr_count 2
		.amdhsa_user_sgpr_dispatch_ptr 0
		.amdhsa_user_sgpr_queue_ptr 0
		.amdhsa_user_sgpr_kernarg_segment_ptr 1
		.amdhsa_user_sgpr_dispatch_id 0
		.amdhsa_user_sgpr_kernarg_preload_length 0
		.amdhsa_user_sgpr_kernarg_preload_offset 0
		.amdhsa_user_sgpr_private_segment_size 0
		.amdhsa_uses_dynamic_stack 0
		.amdhsa_enable_private_segment 0
		.amdhsa_system_sgpr_workgroup_id_x 1
		.amdhsa_system_sgpr_workgroup_id_y 0
		.amdhsa_system_sgpr_workgroup_id_z 0
		.amdhsa_system_sgpr_workgroup_info 0
		.amdhsa_system_vgpr_workitem_id 0
		.amdhsa_next_free_vgpr 12
		.amdhsa_next_free_sgpr 15
		.amdhsa_accum_offset 12
		.amdhsa_reserve_vcc 1
		.amdhsa_float_round_mode_32 0
		.amdhsa_float_round_mode_16_64 0
		.amdhsa_float_denorm_mode_32 3
		.amdhsa_float_denorm_mode_16_64 3
		.amdhsa_dx10_clamp 1
		.amdhsa_ieee_mode 1
		.amdhsa_fp16_overflow 0
		.amdhsa_tg_split 0
		.amdhsa_exception_fp_ieee_invalid_op 0
		.amdhsa_exception_fp_denorm_src 0
		.amdhsa_exception_fp_ieee_div_zero 0
		.amdhsa_exception_fp_ieee_overflow 0
		.amdhsa_exception_fp_ieee_underflow 0
		.amdhsa_exception_fp_ieee_inexact 0
		.amdhsa_exception_int_div_zero 0
	.end_amdhsa_kernel
	.section	.text._Z8vec_fillIiEvPT_S0_i,"axG",@progbits,_Z8vec_fillIiEvPT_S0_i,comdat
.Lfunc_end0:
	.size	_Z8vec_fillIiEvPT_S0_i, .Lfunc_end0-_Z8vec_fillIiEvPT_S0_i
                                        ; -- End function
	.set _Z8vec_fillIiEvPT_S0_i.num_vgpr, 12
	.set _Z8vec_fillIiEvPT_S0_i.num_agpr, 0
	.set _Z8vec_fillIiEvPT_S0_i.numbered_sgpr, 15
	.set _Z8vec_fillIiEvPT_S0_i.num_named_barrier, 0
	.set _Z8vec_fillIiEvPT_S0_i.private_seg_size, 0
	.set _Z8vec_fillIiEvPT_S0_i.uses_vcc, 1
	.set _Z8vec_fillIiEvPT_S0_i.uses_flat_scratch, 0
	.set _Z8vec_fillIiEvPT_S0_i.has_dyn_sized_stack, 0
	.set _Z8vec_fillIiEvPT_S0_i.has_recursion, 0
	.set _Z8vec_fillIiEvPT_S0_i.has_indirect_call, 0
	.section	.AMDGPU.csdata,"",@progbits
; Kernel info:
; codeLenInByte = 504
; TotalNumSgprs: 21
; NumVgprs: 12
; NumAgprs: 0
; TotalNumVgprs: 12
; ScratchSize: 0
; MemoryBound: 0
; FloatMode: 240
; IeeeMode: 1
; LDSByteSize: 0 bytes/workgroup (compile time only)
; SGPRBlocks: 2
; VGPRBlocks: 1
; NumSGPRsForWavesPerEU: 21
; NumVGPRsForWavesPerEU: 12
; AccumOffset: 12
; Occupancy: 8
; WaveLimiterHint : 0
; COMPUTE_PGM_RSRC2:SCRATCH_EN: 0
; COMPUTE_PGM_RSRC2:USER_SGPR: 2
; COMPUTE_PGM_RSRC2:TRAP_HANDLER: 0
; COMPUTE_PGM_RSRC2:TGID_X_EN: 1
; COMPUTE_PGM_RSRC2:TGID_Y_EN: 0
; COMPUTE_PGM_RSRC2:TGID_Z_EN: 0
; COMPUTE_PGM_RSRC2:TIDIG_COMP_CNT: 0
; COMPUTE_PGM_RSRC3_GFX90A:ACCUM_OFFSET: 2
; COMPUTE_PGM_RSRC3_GFX90A:TG_SPLIT: 0
	.section	.text._Z10vec_verifyIiEvPT_S0_i,"axG",@progbits,_Z10vec_verifyIiEvPT_S0_i,comdat
	.protected	_Z10vec_verifyIiEvPT_S0_i ; -- Begin function _Z10vec_verifyIiEvPT_S0_i
	.globl	_Z10vec_verifyIiEvPT_S0_i
	.p2align	8
	.type	_Z10vec_verifyIiEvPT_S0_i,@function
_Z10vec_verifyIiEvPT_S0_i:              ; @_Z10vec_verifyIiEvPT_S0_i
; %bb.0:
	s_load_dword s3, s[0:1], 0x1c
	s_load_dwordx2 s[8:9], s[0:1], 0x8
	s_add_u32 s10, s0, 16
	s_addc_u32 s11, s1, 0
	s_waitcnt lgkmcnt(0)
	s_and_b32 s4, s3, 0xffff
	s_mul_i32 s2, s2, s4
	v_add_u32_e32 v40, s2, v0
	v_cmp_gt_i32_e32 vcc, s9, v40
	s_and_saveexec_b64 s[2:3], vcc
	s_cbranch_execz .LBB1_222
; %bb.1:
	s_load_dword s33, s[10:11], 0x0
	s_load_dwordx2 s[2:3], s[0:1], 0x0
	s_getpc_b64 s[0:1]
	s_add_u32 s0, s0, .str.1@rel32@lo+4
	s_addc_u32 s1, s1, .str.1@rel32@hi+12
	v_mbcnt_lo_u32_b32 v0, -1, 0
	s_cmp_lg_u64 s[0:1], 0
	v_mov_b32_e32 v3, 0
	v_mbcnt_hi_u32_b32 v44, -1, v0
	s_mov_b64 s[12:13], 0
	s_waitcnt lgkmcnt(0)
	s_mul_i32 s33, s33, s4
	s_cselect_b64 s[14:15], -1, 0
	s_mov_b32 s4, 0
	s_movk_i32 s34, 0xff1f
	s_movk_i32 s35, 0xff1d
	v_mov_b32_e32 v6, 2
	v_mov_b32_e32 v7, 1
	v_lshlrev_b32_e32 v42, 6, v44
	v_mov_b32_e32 v8, 33
	v_mov_b32_e32 v9, v3
	;; [unrolled: 1-line block ×4, first 2 shown]
	s_branch .LBB1_3
.LBB1_2:                                ;   in Loop: Header=BB1_3 Depth=1
	s_or_b64 exec, exec, s[16:17]
	v_add_u32_e32 v40, s33, v40
	v_cmp_le_i32_e32 vcc, s9, v40
	s_or_b64 s[12:13], vcc, s[12:13]
	s_andn2_b64 exec, exec, s[12:13]
	s_cbranch_execz .LBB1_222
.LBB1_3:                                ; =>This Loop Header: Depth=1
                                        ;     Child Loop BB1_7 Depth 2
                                        ;     Child Loop BB1_15 Depth 2
	;; [unrolled: 1-line block ×9, first 2 shown]
                                        ;       Child Loop BB1_36 Depth 3
                                        ;       Child Loop BB1_44 Depth 3
	;; [unrolled: 1-line block ×11, first 2 shown]
                                        ;     Child Loop BB1_147 Depth 2
                                        ;     Child Loop BB1_155 Depth 2
	;; [unrolled: 1-line block ×12, first 2 shown]
	v_ashrrev_i32_e32 v41, 31, v40
	v_lshl_add_u64 v[0:1], v[40:41], 2, s[2:3]
	global_load_dword v18, v[0:1], off
	v_mul_lo_u32 v14, v40, s8
	s_waitcnt vmcnt(0)
	v_cmp_ne_u32_e32 vcc, v18, v14
	s_and_saveexec_b64 s[16:17], vcc
	s_cbranch_execz .LBB1_2
; %bb.4:                                ;   in Loop: Header=BB1_3 Depth=1
	s_load_dwordx2 s[18:19], s[10:11], 0x50
	v_readfirstlane_b32 s0, v44
	v_mov_b64_e32 v[0:1], 0
	s_nop 0
	v_cmp_eq_u32_e64 s[0:1], s0, v44
	s_and_saveexec_b64 s[6:7], s[0:1]
	s_cbranch_execz .LBB1_10
; %bb.5:                                ;   in Loop: Header=BB1_3 Depth=1
	s_waitcnt lgkmcnt(0)
	global_load_dwordx2 v[22:23], v3, s[18:19] offset:24 sc0 sc1
	s_waitcnt vmcnt(0)
	buffer_inv sc0 sc1
	global_load_dwordx2 v[0:1], v3, s[18:19] offset:40
	global_load_dwordx2 v[4:5], v3, s[18:19]
	s_waitcnt vmcnt(1)
	v_and_b32_e32 v0, v0, v22
	v_and_b32_e32 v1, v1, v23
	v_mul_lo_u32 v1, v1, 24
	v_mul_hi_u32 v2, v0, 24
	v_add_u32_e32 v1, v2, v1
	v_mul_lo_u32 v0, v0, 24
	s_waitcnt vmcnt(0)
	v_lshl_add_u64 v[0:1], v[4:5], 0, v[0:1]
	global_load_dwordx2 v[20:21], v[0:1], off sc0 sc1
	s_waitcnt vmcnt(0)
	global_atomic_cmpswap_x2 v[0:1], v3, v[20:23], s[18:19] offset:24 sc0 sc1
	s_waitcnt vmcnt(0)
	buffer_inv sc0 sc1
	v_cmp_ne_u64_e32 vcc, v[0:1], v[22:23]
	s_and_saveexec_b64 s[20:21], vcc
	s_cbranch_execz .LBB1_9
; %bb.6:                                ;   in Loop: Header=BB1_3 Depth=1
	s_mov_b64 s[22:23], 0
.LBB1_7:                                ;   Parent Loop BB1_3 Depth=1
                                        ; =>  This Inner Loop Header: Depth=2
	s_sleep 1
	global_load_dwordx2 v[4:5], v3, s[18:19] offset:40
	global_load_dwordx2 v[12:13], v3, s[18:19]
	v_mov_b64_e32 v[22:23], v[0:1]
	s_waitcnt vmcnt(1)
	v_and_b32_e32 v0, v4, v22
	s_waitcnt vmcnt(0)
	v_mad_u64_u32 v[0:1], s[24:25], v0, 24, v[12:13]
	v_and_b32_e32 v5, v5, v23
	v_mov_b32_e32 v2, v1
	v_mad_u64_u32 v[4:5], s[24:25], v5, 24, v[2:3]
	v_mov_b32_e32 v1, v4
	global_load_dwordx2 v[20:21], v[0:1], off sc0 sc1
	s_waitcnt vmcnt(0)
	global_atomic_cmpswap_x2 v[0:1], v3, v[20:23], s[18:19] offset:24 sc0 sc1
	s_waitcnt vmcnt(0)
	buffer_inv sc0 sc1
	v_cmp_eq_u64_e32 vcc, v[0:1], v[22:23]
	s_or_b64 s[22:23], vcc, s[22:23]
	s_andn2_b64 exec, exec, s[22:23]
	s_cbranch_execnz .LBB1_7
; %bb.8:                                ;   in Loop: Header=BB1_3 Depth=1
	s_or_b64 exec, exec, s[22:23]
.LBB1_9:                                ;   in Loop: Header=BB1_3 Depth=1
	s_or_b64 exec, exec, s[20:21]
.LBB1_10:                               ;   in Loop: Header=BB1_3 Depth=1
	s_or_b64 exec, exec, s[6:7]
	s_waitcnt lgkmcnt(0)
	global_load_dwordx2 v[4:5], v3, s[18:19] offset:40
	global_load_dwordx4 v[20:23], v3, s[18:19]
	v_readfirstlane_b32 s21, v1
	v_readfirstlane_b32 s20, v0
	s_mov_b64 s[6:7], exec
	s_waitcnt vmcnt(1)
	v_readfirstlane_b32 s22, v4
	v_readfirstlane_b32 s23, v5
	s_and_b64 s[22:23], s[22:23], s[20:21]
	s_mul_i32 s5, s23, 24
	s_mul_hi_u32 s24, s22, 24
	s_add_i32 s25, s24, s5
	s_mul_i32 s24, s22, 24
	s_waitcnt vmcnt(0)
	v_lshl_add_u64 v[0:1], v[20:21], 0, s[24:25]
	s_and_saveexec_b64 s[24:25], s[0:1]
	s_cbranch_execz .LBB1_12
; %bb.11:                               ;   in Loop: Header=BB1_3 Depth=1
	v_mov_b64_e32 v[4:5], s[6:7]
	global_store_dwordx4 v[0:1], v[4:7], off offset:8
.LBB1_12:                               ;   in Loop: Header=BB1_3 Depth=1
	s_or_b64 exec, exec, s[24:25]
	s_lshl_b64 s[6:7], s[22:23], 12
	v_lshl_add_u64 v[4:5], v[22:23], 0, s[6:7]
	s_mov_b32 s6, s4
	s_mov_b32 s7, s4
	;; [unrolled: 1-line block ×3, first 2 shown]
	v_mov_b64_e32 v[24:25], s[6:7]
	v_readfirstlane_b32 s22, v4
	v_readfirstlane_b32 s23, v5
	v_mov_b64_e32 v[22:23], s[4:5]
	s_nop 3
	global_store_dwordx4 v42, v[8:11], s[22:23]
	global_store_dwordx4 v42, v[22:25], s[22:23] offset:16
	global_store_dwordx4 v42, v[22:25], s[22:23] offset:32
	;; [unrolled: 1-line block ×3, first 2 shown]
	s_and_saveexec_b64 s[6:7], s[0:1]
	s_cbranch_execz .LBB1_20
; %bb.13:                               ;   in Loop: Header=BB1_3 Depth=1
	global_load_dwordx2 v[24:25], v3, s[18:19] offset:32 sc0 sc1
	global_load_dwordx2 v[12:13], v3, s[18:19] offset:40
	v_mov_b32_e32 v22, s20
	v_mov_b32_e32 v23, s21
	s_waitcnt vmcnt(0)
	v_and_b32_e32 v2, s20, v12
	v_and_b32_e32 v12, s21, v13
	v_mul_lo_u32 v13, v12, 24
	v_mul_hi_u32 v15, v2, 24
	v_mul_lo_u32 v12, v2, 24
	v_add_u32_e32 v13, v15, v13
	v_lshl_add_u64 v[12:13], v[20:21], 0, v[12:13]
	global_store_dwordx2 v[12:13], v[24:25], off
	buffer_wbl2 sc0 sc1
	s_waitcnt vmcnt(0)
	global_atomic_cmpswap_x2 v[22:23], v3, v[22:25], s[18:19] offset:32 sc0 sc1
	s_waitcnt vmcnt(0)
	v_cmp_ne_u64_e32 vcc, v[22:23], v[24:25]
	s_and_saveexec_b64 s[22:23], vcc
	s_cbranch_execz .LBB1_16
; %bb.14:                               ;   in Loop: Header=BB1_3 Depth=1
	s_mov_b64 s[24:25], 0
.LBB1_15:                               ;   Parent Loop BB1_3 Depth=1
                                        ; =>  This Inner Loop Header: Depth=2
	s_sleep 1
	global_store_dwordx2 v[12:13], v[22:23], off
	v_mov_b32_e32 v20, s20
	v_mov_b32_e32 v21, s21
	buffer_wbl2 sc0 sc1
	s_waitcnt vmcnt(0)
	global_atomic_cmpswap_x2 v[16:17], v3, v[20:23], s[18:19] offset:32 sc0 sc1
	s_waitcnt vmcnt(0)
	v_cmp_eq_u64_e32 vcc, v[16:17], v[22:23]
	s_or_b64 s[24:25], vcc, s[24:25]
	v_mov_b64_e32 v[22:23], v[16:17]
	s_andn2_b64 exec, exec, s[24:25]
	s_cbranch_execnz .LBB1_15
.LBB1_16:                               ;   in Loop: Header=BB1_3 Depth=1
	s_or_b64 exec, exec, s[22:23]
	global_load_dwordx2 v[12:13], v3, s[18:19] offset:16
	s_mov_b64 s[24:25], exec
	v_mbcnt_lo_u32_b32 v2, s24, 0
	v_mbcnt_hi_u32_b32 v2, s25, v2
	v_cmp_eq_u32_e32 vcc, 0, v2
	s_and_saveexec_b64 s[22:23], vcc
	s_cbranch_execz .LBB1_18
; %bb.17:                               ;   in Loop: Header=BB1_3 Depth=1
	s_bcnt1_i32_b64 s5, s[24:25]
	v_mov_b32_e32 v2, s5
	buffer_wbl2 sc0 sc1
	s_waitcnt vmcnt(0)
	global_atomic_add_x2 v[12:13], v[2:3], off offset:8 sc1
.LBB1_18:                               ;   in Loop: Header=BB1_3 Depth=1
	s_or_b64 exec, exec, s[22:23]
	s_waitcnt vmcnt(0)
	global_load_dwordx2 v[16:17], v[12:13], off offset:16
	s_waitcnt vmcnt(0)
	v_cmp_eq_u64_e32 vcc, 0, v[16:17]
	s_cbranch_vccnz .LBB1_20
; %bb.19:                               ;   in Loop: Header=BB1_3 Depth=1
	global_load_dword v2, v[12:13], off offset:24
	s_waitcnt vmcnt(0)
	v_readfirstlane_b32 s5, v2
	s_and_b32 m0, s5, 0xffffff
	buffer_wbl2 sc0 sc1
	global_store_dwordx2 v[16:17], v[2:3], off sc0 sc1
	s_sendmsg sendmsg(MSG_INTERRUPT)
.LBB1_20:                               ;   in Loop: Header=BB1_3 Depth=1
	s_or_b64 exec, exec, s[6:7]
	v_mov_b32_e32 v43, v3
	v_lshl_add_u64 v[4:5], v[4:5], 0, v[42:43]
	s_branch .LBB1_24
.LBB1_21:                               ;   in Loop: Header=BB1_24 Depth=2
	s_or_b64 exec, exec, s[6:7]
	v_readfirstlane_b32 s5, v2
	s_cmp_eq_u32 s5, 0
	s_cbranch_scc1 .LBB1_23
; %bb.22:                               ;   in Loop: Header=BB1_24 Depth=2
	s_sleep 1
	s_cbranch_execnz .LBB1_24
	s_branch .LBB1_26
.LBB1_23:                               ;   in Loop: Header=BB1_3 Depth=1
	s_branch .LBB1_26
.LBB1_24:                               ;   Parent Loop BB1_3 Depth=1
                                        ; =>  This Inner Loop Header: Depth=2
	v_mov_b32_e32 v2, 1
	s_and_saveexec_b64 s[6:7], s[0:1]
	s_cbranch_execz .LBB1_21
; %bb.25:                               ;   in Loop: Header=BB1_24 Depth=2
	global_load_dword v2, v[0:1], off offset:20 sc0 sc1
	s_waitcnt vmcnt(0)
	buffer_inv sc0 sc1
	v_and_b32_e32 v2, 1, v2
	s_branch .LBB1_21
.LBB1_26:                               ;   in Loop: Header=BB1_3 Depth=1
	global_load_dwordx2 v[0:1], v[4:5], off
	s_and_saveexec_b64 s[6:7], s[0:1]
	s_cbranch_execz .LBB1_30
; %bb.27:                               ;   in Loop: Header=BB1_3 Depth=1
	global_load_dwordx2 v[4:5], v3, s[18:19] offset:40
	global_load_dwordx2 v[24:25], v3, s[18:19] offset:24 sc0 sc1
	global_load_dwordx2 v[12:13], v3, s[18:19]
	s_waitcnt vmcnt(2)
	v_readfirstlane_b32 s22, v4
	v_readfirstlane_b32 s23, v5
	s_add_u32 s5, s22, 1
	s_addc_u32 s24, s23, 0
	s_add_u32 s0, s5, s20
	s_addc_u32 s1, s24, s21
	s_cmp_eq_u64 s[0:1], 0
	s_cselect_b32 s1, s24, s1
	s_cselect_b32 s0, s5, s0
	s_and_b64 s[20:21], s[0:1], s[22:23]
	s_mul_i32 s5, s21, 24
	s_mul_hi_u32 s21, s20, 24
	s_mul_i32 s20, s20, 24
	s_add_i32 s21, s21, s5
	s_waitcnt vmcnt(0)
	v_lshl_add_u64 v[4:5], v[12:13], 0, s[20:21]
	v_mov_b32_e32 v22, s0
	global_store_dwordx2 v[4:5], v[24:25], off
	v_mov_b32_e32 v23, s1
	buffer_wbl2 sc0 sc1
	s_waitcnt vmcnt(0)
	global_atomic_cmpswap_x2 v[22:23], v3, v[22:25], s[18:19] offset:24 sc0 sc1
	s_waitcnt vmcnt(0)
	v_cmp_ne_u64_e32 vcc, v[22:23], v[24:25]
	s_and_b64 exec, exec, vcc
	s_cbranch_execz .LBB1_30
; %bb.28:                               ;   in Loop: Header=BB1_3 Depth=1
	s_mov_b64 s[20:21], 0
.LBB1_29:                               ;   Parent Loop BB1_3 Depth=1
                                        ; =>  This Inner Loop Header: Depth=2
	s_sleep 1
	global_store_dwordx2 v[4:5], v[22:23], off
	v_mov_b32_e32 v20, s0
	v_mov_b32_e32 v21, s1
	buffer_wbl2 sc0 sc1
	s_waitcnt vmcnt(0)
	global_atomic_cmpswap_x2 v[12:13], v3, v[20:23], s[18:19] offset:24 sc0 sc1
	s_waitcnt vmcnt(0)
	v_cmp_eq_u64_e32 vcc, v[12:13], v[22:23]
	s_or_b64 s[20:21], vcc, s[20:21]
	v_mov_b64_e32 v[22:23], v[12:13]
	s_andn2_b64 exec, exec, s[20:21]
	s_cbranch_execnz .LBB1_29
.LBB1_30:                               ;   in Loop: Header=BB1_3 Depth=1
	s_or_b64 exec, exec, s[6:7]
	s_and_b64 vcc, exec, s[14:15]
	s_cbranch_vccz .LBB1_116
; %bb.31:                               ;   in Loop: Header=BB1_3 Depth=1
	s_waitcnt vmcnt(0)
	v_and_b32_e32 v12, 2, v0
	v_and_b32_e32 v20, -3, v0
	v_mov_b32_e32 v21, v1
	s_mov_b64 s[20:21], 35
	s_getpc_b64 s[6:7]
	s_add_u32 s6, s6, .str.1@rel32@lo+4
	s_addc_u32 s7, s7, .str.1@rel32@hi+12
	s_branch .LBB1_33
.LBB1_32:                               ;   in Loop: Header=BB1_33 Depth=2
	s_or_b64 exec, exec, s[26:27]
	s_sub_u32 s20, s20, s22
	s_subb_u32 s21, s21, s23
	s_add_u32 s6, s6, s22
	s_addc_u32 s7, s7, s23
	s_cmp_lg_u64 s[20:21], 0
	s_cbranch_scc0 .LBB1_115
.LBB1_33:                               ;   Parent Loop BB1_3 Depth=1
                                        ; =>  This Loop Header: Depth=2
                                        ;       Child Loop BB1_36 Depth 3
                                        ;       Child Loop BB1_44 Depth 3
	;; [unrolled: 1-line block ×11, first 2 shown]
	v_cmp_lt_u64_e64 s[0:1], s[20:21], 56
	s_and_b64 s[0:1], s[0:1], exec
	s_cselect_b32 s23, s21, 0
	s_cselect_b32 s22, s20, 56
	v_cmp_gt_u64_e64 s[24:25], s[20:21], 7
	s_add_u32 s0, s6, 8
	s_addc_u32 s1, s7, 0
	s_and_b64 vcc, exec, s[24:25]
	s_cbranch_vccnz .LBB1_37
; %bb.34:                               ;   in Loop: Header=BB1_33 Depth=2
	s_cmp_eq_u64 s[20:21], 0
	s_cbranch_scc1 .LBB1_38
; %bb.35:                               ;   in Loop: Header=BB1_33 Depth=2
	s_lshl_b64 s[0:1], s[22:23], 3
	s_mov_b64 s[24:25], 0
	v_mov_b64_e32 v[22:23], 0
	s_mov_b64 s[26:27], s[6:7]
.LBB1_36:                               ;   Parent Loop BB1_3 Depth=1
                                        ;     Parent Loop BB1_33 Depth=2
                                        ; =>    This Inner Loop Header: Depth=3
	global_load_ubyte v2, v3, s[26:27]
	s_waitcnt vmcnt(0)
	v_and_b32_e32 v2, 0xffff, v2
	v_lshlrev_b64 v[4:5], s24, v[2:3]
	s_add_u32 s24, s24, 8
	s_addc_u32 s25, s25, 0
	s_add_u32 s26, s26, 1
	s_addc_u32 s27, s27, 0
	v_or_b32_e32 v22, v4, v22
	s_cmp_lg_u32 s0, s24
	v_or_b32_e32 v23, v5, v23
	s_cbranch_scc1 .LBB1_36
	s_branch .LBB1_39
.LBB1_37:                               ;   in Loop: Header=BB1_33 Depth=2
	s_mov_b32 s5, 0
	s_branch .LBB1_40
.LBB1_38:                               ;   in Loop: Header=BB1_33 Depth=2
	v_mov_b64_e32 v[22:23], 0
.LBB1_39:                               ;   in Loop: Header=BB1_33 Depth=2
	s_mov_b64 s[0:1], s[6:7]
	s_mov_b32 s5, 0
	s_cbranch_execnz .LBB1_41
.LBB1_40:                               ;   in Loop: Header=BB1_33 Depth=2
	global_load_dwordx2 v[22:23], v3, s[6:7]
	s_add_i32 s5, s22, -8
.LBB1_41:                               ;   in Loop: Header=BB1_33 Depth=2
	s_add_u32 s24, s0, 8
	s_addc_u32 s25, s1, 0
	s_cmp_gt_u32 s5, 7
	s_cbranch_scc1 .LBB1_45
; %bb.42:                               ;   in Loop: Header=BB1_33 Depth=2
	s_cmp_eq_u32 s5, 0
	s_cbranch_scc1 .LBB1_46
; %bb.43:                               ;   in Loop: Header=BB1_33 Depth=2
	s_mov_b64 s[24:25], 0
	v_mov_b64_e32 v[24:25], 0
	s_mov_b64 s[26:27], 0
.LBB1_44:                               ;   Parent Loop BB1_3 Depth=1
                                        ;     Parent Loop BB1_33 Depth=2
                                        ; =>    This Inner Loop Header: Depth=3
	s_add_u32 s28, s0, s26
	s_addc_u32 s29, s1, s27
	global_load_ubyte v2, v3, s[28:29]
	s_add_u32 s26, s26, 1
	s_addc_u32 s27, s27, 0
	s_waitcnt vmcnt(0)
	v_and_b32_e32 v2, 0xffff, v2
	v_lshlrev_b64 v[4:5], s24, v[2:3]
	s_add_u32 s24, s24, 8
	s_addc_u32 s25, s25, 0
	v_or_b32_e32 v24, v4, v24
	s_cmp_lg_u32 s5, s26
	v_or_b32_e32 v25, v5, v25
	s_cbranch_scc1 .LBB1_44
	s_branch .LBB1_47
.LBB1_45:                               ;   in Loop: Header=BB1_33 Depth=2
                                        ; implicit-def: $vgpr24_vgpr25
	s_mov_b32 s28, 0
	s_branch .LBB1_48
.LBB1_46:                               ;   in Loop: Header=BB1_33 Depth=2
	v_mov_b64_e32 v[24:25], 0
.LBB1_47:                               ;   in Loop: Header=BB1_33 Depth=2
	s_mov_b64 s[24:25], s[0:1]
	s_mov_b32 s28, 0
	s_cbranch_execnz .LBB1_49
.LBB1_48:                               ;   in Loop: Header=BB1_33 Depth=2
	global_load_dwordx2 v[24:25], v3, s[0:1]
	s_add_i32 s28, s5, -8
.LBB1_49:                               ;   in Loop: Header=BB1_33 Depth=2
	s_add_u32 s0, s24, 8
	s_addc_u32 s1, s25, 0
	s_cmp_gt_u32 s28, 7
	s_cbranch_scc1 .LBB1_53
; %bb.50:                               ;   in Loop: Header=BB1_33 Depth=2
	s_cmp_eq_u32 s28, 0
	s_cbranch_scc1 .LBB1_54
; %bb.51:                               ;   in Loop: Header=BB1_33 Depth=2
	s_mov_b64 s[0:1], 0
	v_mov_b64_e32 v[26:27], 0
	s_mov_b64 s[26:27], 0
.LBB1_52:                               ;   Parent Loop BB1_3 Depth=1
                                        ;     Parent Loop BB1_33 Depth=2
                                        ; =>    This Inner Loop Header: Depth=3
	s_add_u32 s30, s24, s26
	s_addc_u32 s31, s25, s27
	global_load_ubyte v2, v3, s[30:31]
	s_add_u32 s26, s26, 1
	s_addc_u32 s27, s27, 0
	s_waitcnt vmcnt(0)
	v_and_b32_e32 v2, 0xffff, v2
	v_lshlrev_b64 v[4:5], s0, v[2:3]
	s_add_u32 s0, s0, 8
	s_addc_u32 s1, s1, 0
	v_or_b32_e32 v26, v4, v26
	s_cmp_lg_u32 s28, s26
	v_or_b32_e32 v27, v5, v27
	s_cbranch_scc1 .LBB1_52
	s_branch .LBB1_55
.LBB1_53:                               ;   in Loop: Header=BB1_33 Depth=2
	s_mov_b32 s5, 0
	s_branch .LBB1_56
.LBB1_54:                               ;   in Loop: Header=BB1_33 Depth=2
	v_mov_b64_e32 v[26:27], 0
.LBB1_55:                               ;   in Loop: Header=BB1_33 Depth=2
	s_mov_b64 s[0:1], s[24:25]
	s_mov_b32 s5, 0
	s_cbranch_execnz .LBB1_57
.LBB1_56:                               ;   in Loop: Header=BB1_33 Depth=2
	global_load_dwordx2 v[26:27], v3, s[24:25]
	s_add_i32 s5, s28, -8
.LBB1_57:                               ;   in Loop: Header=BB1_33 Depth=2
	s_add_u32 s24, s0, 8
	s_addc_u32 s25, s1, 0
	s_cmp_gt_u32 s5, 7
	s_cbranch_scc1 .LBB1_61
; %bb.58:                               ;   in Loop: Header=BB1_33 Depth=2
	s_cmp_eq_u32 s5, 0
	s_cbranch_scc1 .LBB1_62
; %bb.59:                               ;   in Loop: Header=BB1_33 Depth=2
	s_mov_b64 s[24:25], 0
	v_mov_b64_e32 v[28:29], 0
	s_mov_b64 s[26:27], 0
.LBB1_60:                               ;   Parent Loop BB1_3 Depth=1
                                        ;     Parent Loop BB1_33 Depth=2
                                        ; =>    This Inner Loop Header: Depth=3
	s_add_u32 s28, s0, s26
	s_addc_u32 s29, s1, s27
	global_load_ubyte v2, v3, s[28:29]
	s_add_u32 s26, s26, 1
	s_addc_u32 s27, s27, 0
	s_waitcnt vmcnt(0)
	v_and_b32_e32 v2, 0xffff, v2
	v_lshlrev_b64 v[4:5], s24, v[2:3]
	s_add_u32 s24, s24, 8
	s_addc_u32 s25, s25, 0
	v_or_b32_e32 v28, v4, v28
	s_cmp_lg_u32 s5, s26
	v_or_b32_e32 v29, v5, v29
	s_cbranch_scc1 .LBB1_60
	s_branch .LBB1_63
.LBB1_61:                               ;   in Loop: Header=BB1_33 Depth=2
                                        ; implicit-def: $vgpr28_vgpr29
	s_mov_b32 s28, 0
	s_branch .LBB1_64
.LBB1_62:                               ;   in Loop: Header=BB1_33 Depth=2
	v_mov_b64_e32 v[28:29], 0
.LBB1_63:                               ;   in Loop: Header=BB1_33 Depth=2
	s_mov_b64 s[24:25], s[0:1]
	s_mov_b32 s28, 0
	s_cbranch_execnz .LBB1_65
.LBB1_64:                               ;   in Loop: Header=BB1_33 Depth=2
	global_load_dwordx2 v[28:29], v3, s[0:1]
	s_add_i32 s28, s5, -8
.LBB1_65:                               ;   in Loop: Header=BB1_33 Depth=2
	s_add_u32 s0, s24, 8
	s_addc_u32 s1, s25, 0
	s_cmp_gt_u32 s28, 7
	s_cbranch_scc1 .LBB1_69
; %bb.66:                               ;   in Loop: Header=BB1_33 Depth=2
	s_cmp_eq_u32 s28, 0
	s_cbranch_scc1 .LBB1_70
; %bb.67:                               ;   in Loop: Header=BB1_33 Depth=2
	s_mov_b64 s[0:1], 0
	v_mov_b64_e32 v[30:31], 0
	s_mov_b64 s[26:27], 0
.LBB1_68:                               ;   Parent Loop BB1_3 Depth=1
                                        ;     Parent Loop BB1_33 Depth=2
                                        ; =>    This Inner Loop Header: Depth=3
	s_add_u32 s30, s24, s26
	s_addc_u32 s31, s25, s27
	global_load_ubyte v2, v3, s[30:31]
	s_add_u32 s26, s26, 1
	s_addc_u32 s27, s27, 0
	s_waitcnt vmcnt(0)
	v_and_b32_e32 v2, 0xffff, v2
	v_lshlrev_b64 v[4:5], s0, v[2:3]
	s_add_u32 s0, s0, 8
	s_addc_u32 s1, s1, 0
	v_or_b32_e32 v30, v4, v30
	s_cmp_lg_u32 s28, s26
	v_or_b32_e32 v31, v5, v31
	s_cbranch_scc1 .LBB1_68
	s_branch .LBB1_71
.LBB1_69:                               ;   in Loop: Header=BB1_33 Depth=2
	s_mov_b32 s5, 0
	s_branch .LBB1_72
.LBB1_70:                               ;   in Loop: Header=BB1_33 Depth=2
	v_mov_b64_e32 v[30:31], 0
.LBB1_71:                               ;   in Loop: Header=BB1_33 Depth=2
	s_mov_b64 s[0:1], s[24:25]
	s_mov_b32 s5, 0
	s_cbranch_execnz .LBB1_73
.LBB1_72:                               ;   in Loop: Header=BB1_33 Depth=2
	global_load_dwordx2 v[30:31], v3, s[24:25]
	s_add_i32 s5, s28, -8
.LBB1_73:                               ;   in Loop: Header=BB1_33 Depth=2
	s_add_u32 s24, s0, 8
	s_addc_u32 s25, s1, 0
	s_cmp_gt_u32 s5, 7
	s_cbranch_scc1 .LBB1_77
; %bb.74:                               ;   in Loop: Header=BB1_33 Depth=2
	s_cmp_eq_u32 s5, 0
	s_cbranch_scc1 .LBB1_78
; %bb.75:                               ;   in Loop: Header=BB1_33 Depth=2
	s_mov_b64 s[24:25], 0
	v_mov_b64_e32 v[32:33], 0
	s_mov_b64 s[26:27], 0
.LBB1_76:                               ;   Parent Loop BB1_3 Depth=1
                                        ;     Parent Loop BB1_33 Depth=2
                                        ; =>    This Inner Loop Header: Depth=3
	s_add_u32 s28, s0, s26
	s_addc_u32 s29, s1, s27
	global_load_ubyte v2, v3, s[28:29]
	s_add_u32 s26, s26, 1
	s_addc_u32 s27, s27, 0
	s_waitcnt vmcnt(0)
	v_and_b32_e32 v2, 0xffff, v2
	v_lshlrev_b64 v[4:5], s24, v[2:3]
	s_add_u32 s24, s24, 8
	s_addc_u32 s25, s25, 0
	v_or_b32_e32 v32, v4, v32
	s_cmp_lg_u32 s5, s26
	v_or_b32_e32 v33, v5, v33
	s_cbranch_scc1 .LBB1_76
	s_branch .LBB1_79
.LBB1_77:                               ;   in Loop: Header=BB1_33 Depth=2
                                        ; implicit-def: $vgpr32_vgpr33
	s_mov_b32 s28, 0
	s_branch .LBB1_80
.LBB1_78:                               ;   in Loop: Header=BB1_33 Depth=2
	v_mov_b64_e32 v[32:33], 0
.LBB1_79:                               ;   in Loop: Header=BB1_33 Depth=2
	s_mov_b64 s[24:25], s[0:1]
	s_mov_b32 s28, 0
	s_cbranch_execnz .LBB1_81
.LBB1_80:                               ;   in Loop: Header=BB1_33 Depth=2
	global_load_dwordx2 v[32:33], v3, s[0:1]
	s_add_i32 s28, s5, -8
.LBB1_81:                               ;   in Loop: Header=BB1_33 Depth=2
	s_cmp_gt_u32 s28, 7
	s_cbranch_scc1 .LBB1_85
; %bb.82:                               ;   in Loop: Header=BB1_33 Depth=2
	s_cmp_eq_u32 s28, 0
	s_cbranch_scc1 .LBB1_86
; %bb.83:                               ;   in Loop: Header=BB1_33 Depth=2
	s_mov_b64 s[0:1], 0
	v_mov_b64_e32 v[34:35], 0
	s_mov_b64 s[26:27], s[24:25]
.LBB1_84:                               ;   Parent Loop BB1_3 Depth=1
                                        ;     Parent Loop BB1_33 Depth=2
                                        ; =>    This Inner Loop Header: Depth=3
	global_load_ubyte v2, v3, s[26:27]
	s_add_i32 s28, s28, -1
	s_waitcnt vmcnt(0)
	v_and_b32_e32 v2, 0xffff, v2
	v_lshlrev_b64 v[4:5], s0, v[2:3]
	s_add_u32 s0, s0, 8
	s_addc_u32 s1, s1, 0
	s_add_u32 s26, s26, 1
	s_addc_u32 s27, s27, 0
	v_or_b32_e32 v34, v4, v34
	s_cmp_lg_u32 s28, 0
	v_or_b32_e32 v35, v5, v35
	s_cbranch_scc1 .LBB1_84
	s_branch .LBB1_87
.LBB1_85:                               ;   in Loop: Header=BB1_33 Depth=2
	s_branch .LBB1_88
.LBB1_86:                               ;   in Loop: Header=BB1_33 Depth=2
	v_mov_b64_e32 v[34:35], 0
.LBB1_87:                               ;   in Loop: Header=BB1_33 Depth=2
	s_cbranch_execnz .LBB1_89
.LBB1_88:                               ;   in Loop: Header=BB1_33 Depth=2
	global_load_dwordx2 v[34:35], v3, s[24:25]
.LBB1_89:                               ;   in Loop: Header=BB1_33 Depth=2
	v_readfirstlane_b32 s0, v44
	v_mov_b64_e32 v[4:5], 0
	s_nop 0
	v_cmp_eq_u32_e64 s[0:1], s0, v44
	s_and_saveexec_b64 s[24:25], s[0:1]
	s_cbranch_execz .LBB1_95
; %bb.90:                               ;   in Loop: Header=BB1_33 Depth=2
	global_load_dwordx2 v[38:39], v3, s[18:19] offset:24 sc0 sc1
	s_waitcnt vmcnt(0)
	buffer_inv sc0 sc1
	global_load_dwordx2 v[4:5], v3, s[18:19] offset:40
	global_load_dwordx2 v[16:17], v3, s[18:19]
	s_waitcnt vmcnt(1)
	v_and_b32_e32 v2, v4, v38
	v_and_b32_e32 v4, v5, v39
	v_mul_lo_u32 v4, v4, 24
	v_mul_hi_u32 v5, v2, 24
	v_add_u32_e32 v5, v5, v4
	v_mul_lo_u32 v4, v2, 24
	s_waitcnt vmcnt(0)
	v_lshl_add_u64 v[4:5], v[16:17], 0, v[4:5]
	global_load_dwordx2 v[36:37], v[4:5], off sc0 sc1
	s_waitcnt vmcnt(0)
	global_atomic_cmpswap_x2 v[4:5], v3, v[36:39], s[18:19] offset:24 sc0 sc1
	s_waitcnt vmcnt(0)
	buffer_inv sc0 sc1
	v_cmp_ne_u64_e32 vcc, v[4:5], v[38:39]
	s_and_saveexec_b64 s[26:27], vcc
	s_cbranch_execz .LBB1_94
; %bb.91:                               ;   in Loop: Header=BB1_33 Depth=2
	s_mov_b64 s[28:29], 0
.LBB1_92:                               ;   Parent Loop BB1_3 Depth=1
                                        ;     Parent Loop BB1_33 Depth=2
                                        ; =>    This Inner Loop Header: Depth=3
	s_sleep 1
	global_load_dwordx2 v[16:17], v3, s[18:19] offset:40
	global_load_dwordx2 v[36:37], v3, s[18:19]
	v_mov_b64_e32 v[38:39], v[4:5]
	s_waitcnt vmcnt(1)
	v_and_b32_e32 v2, v16, v38
	s_waitcnt vmcnt(0)
	v_mad_u64_u32 v[4:5], s[30:31], v2, 24, v[36:37]
	v_and_b32_e32 v13, v17, v39
	v_mov_b32_e32 v2, v5
	v_mad_u64_u32 v[16:17], s[30:31], v13, 24, v[2:3]
	v_mov_b32_e32 v5, v16
	global_load_dwordx2 v[36:37], v[4:5], off sc0 sc1
	s_waitcnt vmcnt(0)
	global_atomic_cmpswap_x2 v[4:5], v3, v[36:39], s[18:19] offset:24 sc0 sc1
	s_waitcnt vmcnt(0)
	buffer_inv sc0 sc1
	v_cmp_eq_u64_e32 vcc, v[4:5], v[38:39]
	s_or_b64 s[28:29], vcc, s[28:29]
	s_andn2_b64 exec, exec, s[28:29]
	s_cbranch_execnz .LBB1_92
; %bb.93:                               ;   in Loop: Header=BB1_33 Depth=2
	s_or_b64 exec, exec, s[28:29]
.LBB1_94:                               ;   in Loop: Header=BB1_33 Depth=2
	s_or_b64 exec, exec, s[26:27]
.LBB1_95:                               ;   in Loop: Header=BB1_33 Depth=2
	s_or_b64 exec, exec, s[24:25]
	global_load_dwordx2 v[16:17], v3, s[18:19] offset:40
	global_load_dwordx4 v[36:39], v3, s[18:19]
	v_readfirstlane_b32 s25, v5
	v_readfirstlane_b32 s24, v4
	s_mov_b64 s[26:27], exec
	s_waitcnt vmcnt(1)
	v_readfirstlane_b32 s28, v16
	v_readfirstlane_b32 s29, v17
	s_and_b64 s[28:29], s[28:29], s[24:25]
	s_mul_i32 s5, s29, 24
	s_mul_hi_u32 s30, s28, 24
	s_add_i32 s31, s30, s5
	s_mul_i32 s30, s28, 24
	s_waitcnt vmcnt(0)
	v_lshl_add_u64 v[16:17], v[36:37], 0, s[30:31]
	s_and_saveexec_b64 s[30:31], s[0:1]
	s_cbranch_execz .LBB1_97
; %bb.96:                               ;   in Loop: Header=BB1_33 Depth=2
	v_mov_b64_e32 v[4:5], s[26:27]
	global_store_dwordx4 v[16:17], v[4:7], off offset:8
.LBB1_97:                               ;   in Loop: Header=BB1_33 Depth=2
	s_or_b64 exec, exec, s[30:31]
	v_cmp_lt_u64_e64 vcc, s[20:21], 57
	s_lshl_b32 s5, s22, 2
	s_lshl_b64 s[26:27], s[28:29], 12
	v_cndmask_b32_e32 v2, 0, v12, vcc
	s_add_i32 s5, s5, 28
	v_and_b32_e32 v13, 0xffffff1f, v20
	v_lshl_add_u64 v[4:5], v[38:39], 0, s[26:27]
	s_and_b32 s5, s5, 0x1e0
	v_or_b32_e32 v2, v13, v2
	v_or_b32_e32 v20, s5, v2
	v_readfirstlane_b32 s26, v4
	v_readfirstlane_b32 s27, v5
	s_nop 4
	global_store_dwordx4 v42, v[20:23], s[26:27]
	global_store_dwordx4 v42, v[24:27], s[26:27] offset:16
	global_store_dwordx4 v42, v[28:31], s[26:27] offset:32
	;; [unrolled: 1-line block ×3, first 2 shown]
	s_and_saveexec_b64 s[26:27], s[0:1]
	s_cbranch_execz .LBB1_105
; %bb.98:                               ;   in Loop: Header=BB1_33 Depth=2
	global_load_dwordx2 v[28:29], v3, s[18:19] offset:32 sc0 sc1
	global_load_dwordx2 v[20:21], v3, s[18:19] offset:40
	v_mov_b32_e32 v26, s24
	v_mov_b32_e32 v27, s25
	s_waitcnt vmcnt(0)
	v_readfirstlane_b32 s28, v20
	v_readfirstlane_b32 s29, v21
	s_and_b64 s[28:29], s[28:29], s[24:25]
	s_mul_i32 s5, s29, 24
	s_mul_hi_u32 s29, s28, 24
	s_mul_i32 s28, s28, 24
	s_add_i32 s29, s29, s5
	v_lshl_add_u64 v[24:25], v[36:37], 0, s[28:29]
	global_store_dwordx2 v[24:25], v[28:29], off
	buffer_wbl2 sc0 sc1
	s_waitcnt vmcnt(0)
	global_atomic_cmpswap_x2 v[22:23], v3, v[26:29], s[18:19] offset:32 sc0 sc1
	s_waitcnt vmcnt(0)
	v_cmp_ne_u64_e32 vcc, v[22:23], v[28:29]
	s_and_saveexec_b64 s[28:29], vcc
	s_cbranch_execz .LBB1_101
; %bb.99:                               ;   in Loop: Header=BB1_33 Depth=2
	s_mov_b64 s[30:31], 0
.LBB1_100:                              ;   Parent Loop BB1_3 Depth=1
                                        ;     Parent Loop BB1_33 Depth=2
                                        ; =>    This Inner Loop Header: Depth=3
	s_sleep 1
	global_store_dwordx2 v[24:25], v[22:23], off
	v_mov_b32_e32 v20, s24
	v_mov_b32_e32 v21, s25
	buffer_wbl2 sc0 sc1
	s_waitcnt vmcnt(0)
	global_atomic_cmpswap_x2 v[20:21], v3, v[20:23], s[18:19] offset:32 sc0 sc1
	s_waitcnt vmcnt(0)
	v_cmp_eq_u64_e32 vcc, v[20:21], v[22:23]
	s_or_b64 s[30:31], vcc, s[30:31]
	v_mov_b64_e32 v[22:23], v[20:21]
	s_andn2_b64 exec, exec, s[30:31]
	s_cbranch_execnz .LBB1_100
.LBB1_101:                              ;   in Loop: Header=BB1_33 Depth=2
	s_or_b64 exec, exec, s[28:29]
	global_load_dwordx2 v[20:21], v3, s[18:19] offset:16
	s_mov_b64 s[30:31], exec
	v_mbcnt_lo_u32_b32 v2, s30, 0
	v_mbcnt_hi_u32_b32 v2, s31, v2
	v_cmp_eq_u32_e32 vcc, 0, v2
	s_and_saveexec_b64 s[28:29], vcc
	s_cbranch_execz .LBB1_103
; %bb.102:                              ;   in Loop: Header=BB1_33 Depth=2
	s_bcnt1_i32_b64 s5, s[30:31]
	v_mov_b32_e32 v2, s5
	buffer_wbl2 sc0 sc1
	s_waitcnt vmcnt(0)
	global_atomic_add_x2 v[20:21], v[2:3], off offset:8 sc1
.LBB1_103:                              ;   in Loop: Header=BB1_33 Depth=2
	s_or_b64 exec, exec, s[28:29]
	s_waitcnt vmcnt(0)
	global_load_dwordx2 v[22:23], v[20:21], off offset:16
	s_waitcnt vmcnt(0)
	v_cmp_eq_u64_e32 vcc, 0, v[22:23]
	s_cbranch_vccnz .LBB1_105
; %bb.104:                              ;   in Loop: Header=BB1_33 Depth=2
	global_load_dword v2, v[20:21], off offset:24
	s_waitcnt vmcnt(0)
	v_readfirstlane_b32 s5, v2
	s_and_b32 m0, s5, 0xffffff
	buffer_wbl2 sc0 sc1
	global_store_dwordx2 v[22:23], v[2:3], off sc0 sc1
	s_sendmsg sendmsg(MSG_INTERRUPT)
.LBB1_105:                              ;   in Loop: Header=BB1_33 Depth=2
	s_or_b64 exec, exec, s[26:27]
	v_mov_b32_e32 v43, v3
	v_lshl_add_u64 v[4:5], v[4:5], 0, v[42:43]
	s_branch .LBB1_109
.LBB1_106:                              ;   in Loop: Header=BB1_109 Depth=3
	s_or_b64 exec, exec, s[26:27]
	v_readfirstlane_b32 s5, v2
	s_cmp_eq_u32 s5, 0
	s_cbranch_scc1 .LBB1_108
; %bb.107:                              ;   in Loop: Header=BB1_109 Depth=3
	s_sleep 1
	s_cbranch_execnz .LBB1_109
	s_branch .LBB1_111
.LBB1_108:                              ;   in Loop: Header=BB1_33 Depth=2
	s_branch .LBB1_111
.LBB1_109:                              ;   Parent Loop BB1_3 Depth=1
                                        ;     Parent Loop BB1_33 Depth=2
                                        ; =>    This Inner Loop Header: Depth=3
	v_mov_b32_e32 v2, 1
	s_and_saveexec_b64 s[26:27], s[0:1]
	s_cbranch_execz .LBB1_106
; %bb.110:                              ;   in Loop: Header=BB1_109 Depth=3
	global_load_dword v2, v[16:17], off offset:20 sc0 sc1
	s_waitcnt vmcnt(0)
	buffer_inv sc0 sc1
	v_and_b32_e32 v2, 1, v2
	s_branch .LBB1_106
.LBB1_111:                              ;   in Loop: Header=BB1_33 Depth=2
	global_load_dwordx2 v[20:21], v[4:5], off
	s_and_saveexec_b64 s[26:27], s[0:1]
	s_cbranch_execz .LBB1_32
; %bb.112:                              ;   in Loop: Header=BB1_33 Depth=2
	global_load_dwordx2 v[4:5], v3, s[18:19] offset:40
	global_load_dwordx2 v[26:27], v3, s[18:19] offset:24 sc0 sc1
	global_load_dwordx2 v[16:17], v3, s[18:19]
	s_waitcnt vmcnt(2)
	v_readfirstlane_b32 s28, v4
	v_readfirstlane_b32 s29, v5
	s_add_u32 s5, s28, 1
	s_addc_u32 s30, s29, 0
	s_add_u32 s0, s5, s24
	s_addc_u32 s1, s30, s25
	s_cmp_eq_u64 s[0:1], 0
	s_cselect_b32 s1, s30, s1
	s_cselect_b32 s0, s5, s0
	s_and_b64 s[24:25], s[0:1], s[28:29]
	s_mul_i32 s5, s25, 24
	s_mul_hi_u32 s25, s24, 24
	s_mul_i32 s24, s24, 24
	s_add_i32 s25, s25, s5
	s_waitcnt vmcnt(0)
	v_lshl_add_u64 v[4:5], v[16:17], 0, s[24:25]
	v_mov_b32_e32 v24, s0
	global_store_dwordx2 v[4:5], v[26:27], off
	v_mov_b32_e32 v25, s1
	buffer_wbl2 sc0 sc1
	s_waitcnt vmcnt(0)
	global_atomic_cmpswap_x2 v[24:25], v3, v[24:27], s[18:19] offset:24 sc0 sc1
	s_waitcnt vmcnt(0)
	v_cmp_ne_u64_e32 vcc, v[24:25], v[26:27]
	s_and_b64 exec, exec, vcc
	s_cbranch_execz .LBB1_32
; %bb.113:                              ;   in Loop: Header=BB1_33 Depth=2
	s_mov_b64 s[24:25], 0
.LBB1_114:                              ;   Parent Loop BB1_3 Depth=1
                                        ;     Parent Loop BB1_33 Depth=2
                                        ; =>    This Inner Loop Header: Depth=3
	s_sleep 1
	global_store_dwordx2 v[4:5], v[24:25], off
	v_mov_b32_e32 v22, s0
	v_mov_b32_e32 v23, s1
	buffer_wbl2 sc0 sc1
	s_waitcnt vmcnt(0)
	global_atomic_cmpswap_x2 v[16:17], v3, v[22:25], s[18:19] offset:24 sc0 sc1
	s_waitcnt vmcnt(0)
	v_cmp_eq_u64_e32 vcc, v[16:17], v[24:25]
	s_or_b64 s[24:25], vcc, s[24:25]
	v_mov_b64_e32 v[24:25], v[16:17]
	s_andn2_b64 exec, exec, s[24:25]
	s_cbranch_execnz .LBB1_114
	s_branch .LBB1_32
.LBB1_115:                              ;   in Loop: Header=BB1_3 Depth=1
	s_branch .LBB1_144
.LBB1_116:                              ;   in Loop: Header=BB1_3 Depth=1
                                        ; implicit-def: $vgpr20_vgpr21
	s_cbranch_execz .LBB1_144
; %bb.117:                              ;   in Loop: Header=BB1_3 Depth=1
	v_readfirstlane_b32 s0, v44
	v_mov_b64_e32 v[4:5], 0
	s_nop 0
	v_cmp_eq_u32_e64 s[0:1], s0, v44
	s_and_saveexec_b64 s[6:7], s[0:1]
	s_cbranch_execz .LBB1_123
; %bb.118:                              ;   in Loop: Header=BB1_3 Depth=1
	global_load_dwordx2 v[22:23], v3, s[18:19] offset:24 sc0 sc1
	s_waitcnt vmcnt(0)
	buffer_inv sc0 sc1
	global_load_dwordx2 v[4:5], v3, s[18:19] offset:40
	global_load_dwordx2 v[12:13], v3, s[18:19]
	s_waitcnt vmcnt(1)
	v_and_b32_e32 v2, v4, v22
	v_and_b32_e32 v4, v5, v23
	v_mul_lo_u32 v4, v4, 24
	v_mul_hi_u32 v5, v2, 24
	v_add_u32_e32 v5, v5, v4
	v_mul_lo_u32 v4, v2, 24
	s_waitcnt vmcnt(0)
	v_lshl_add_u64 v[4:5], v[12:13], 0, v[4:5]
	global_load_dwordx2 v[20:21], v[4:5], off sc0 sc1
	s_waitcnt vmcnt(0)
	global_atomic_cmpswap_x2 v[4:5], v3, v[20:23], s[18:19] offset:24 sc0 sc1
	s_waitcnt vmcnt(0)
	buffer_inv sc0 sc1
	v_cmp_ne_u64_e32 vcc, v[4:5], v[22:23]
	s_and_saveexec_b64 s[20:21], vcc
	s_cbranch_execz .LBB1_122
; %bb.119:                              ;   in Loop: Header=BB1_3 Depth=1
	s_mov_b64 s[22:23], 0
.LBB1_120:                              ;   Parent Loop BB1_3 Depth=1
                                        ; =>  This Inner Loop Header: Depth=2
	s_sleep 1
	global_load_dwordx2 v[12:13], v3, s[18:19] offset:40
	global_load_dwordx2 v[16:17], v3, s[18:19]
	v_mov_b64_e32 v[22:23], v[4:5]
	s_waitcnt vmcnt(1)
	v_and_b32_e32 v2, v12, v22
	s_waitcnt vmcnt(0)
	v_mad_u64_u32 v[4:5], s[24:25], v2, 24, v[16:17]
	v_and_b32_e32 v13, v13, v23
	v_mov_b32_e32 v2, v5
	v_mad_u64_u32 v[12:13], s[24:25], v13, 24, v[2:3]
	v_mov_b32_e32 v5, v12
	global_load_dwordx2 v[20:21], v[4:5], off sc0 sc1
	s_waitcnt vmcnt(0)
	global_atomic_cmpswap_x2 v[4:5], v3, v[20:23], s[18:19] offset:24 sc0 sc1
	s_waitcnt vmcnt(0)
	buffer_inv sc0 sc1
	v_cmp_eq_u64_e32 vcc, v[4:5], v[22:23]
	s_or_b64 s[22:23], vcc, s[22:23]
	s_andn2_b64 exec, exec, s[22:23]
	s_cbranch_execnz .LBB1_120
; %bb.121:                              ;   in Loop: Header=BB1_3 Depth=1
	s_or_b64 exec, exec, s[22:23]
.LBB1_122:                              ;   in Loop: Header=BB1_3 Depth=1
	s_or_b64 exec, exec, s[20:21]
.LBB1_123:                              ;   in Loop: Header=BB1_3 Depth=1
	s_or_b64 exec, exec, s[6:7]
	global_load_dwordx2 v[12:13], v3, s[18:19] offset:40
	global_load_dwordx4 v[20:23], v3, s[18:19]
	v_readfirstlane_b32 s21, v5
	v_readfirstlane_b32 s20, v4
	s_mov_b64 s[6:7], exec
	s_waitcnt vmcnt(1)
	v_readfirstlane_b32 s22, v12
	v_readfirstlane_b32 s23, v13
	s_and_b64 s[22:23], s[22:23], s[20:21]
	s_mul_i32 s5, s23, 24
	s_mul_hi_u32 s24, s22, 24
	s_add_i32 s25, s24, s5
	s_mul_i32 s24, s22, 24
	s_waitcnt vmcnt(0)
	v_lshl_add_u64 v[12:13], v[20:21], 0, s[24:25]
	s_and_saveexec_b64 s[24:25], s[0:1]
	s_cbranch_execz .LBB1_125
; %bb.124:                              ;   in Loop: Header=BB1_3 Depth=1
	v_mov_b64_e32 v[4:5], s[6:7]
	global_store_dwordx4 v[12:13], v[4:7], off offset:8
.LBB1_125:                              ;   in Loop: Header=BB1_3 Depth=1
	s_or_b64 exec, exec, s[24:25]
	s_lshl_b64 s[6:7], s[22:23], 12
	v_lshl_add_u64 v[4:5], v[22:23], 0, s[6:7]
	s_mov_b32 s6, s4
	s_mov_b32 s7, s4
	;; [unrolled: 1-line block ×3, first 2 shown]
	v_mov_b64_e32 v[24:25], s[6:7]
	v_and_or_b32 v0, v0, s34, 32
	v_mov_b32_e32 v2, v3
	v_readfirstlane_b32 s22, v4
	v_readfirstlane_b32 s23, v5
	v_mov_b64_e32 v[22:23], s[4:5]
	s_nop 3
	global_store_dwordx4 v42, v[0:3], s[22:23]
	global_store_dwordx4 v42, v[22:25], s[22:23] offset:16
	global_store_dwordx4 v42, v[22:25], s[22:23] offset:32
	;; [unrolled: 1-line block ×3, first 2 shown]
	s_and_saveexec_b64 s[6:7], s[0:1]
	s_cbranch_execz .LBB1_133
; %bb.126:                              ;   in Loop: Header=BB1_3 Depth=1
	global_load_dwordx2 v[24:25], v3, s[18:19] offset:32 sc0 sc1
	global_load_dwordx2 v[0:1], v3, s[18:19] offset:40
	v_mov_b32_e32 v22, s20
	v_mov_b32_e32 v23, s21
	s_waitcnt vmcnt(0)
	v_readfirstlane_b32 s22, v0
	v_readfirstlane_b32 s23, v1
	s_and_b64 s[22:23], s[22:23], s[20:21]
	s_mul_i32 s5, s23, 24
	s_mul_hi_u32 s23, s22, 24
	s_mul_i32 s22, s22, 24
	s_add_i32 s23, s23, s5
	v_lshl_add_u64 v[0:1], v[20:21], 0, s[22:23]
	global_store_dwordx2 v[0:1], v[24:25], off
	buffer_wbl2 sc0 sc1
	s_waitcnt vmcnt(0)
	global_atomic_cmpswap_x2 v[22:23], v3, v[22:25], s[18:19] offset:32 sc0 sc1
	s_waitcnt vmcnt(0)
	v_cmp_ne_u64_e32 vcc, v[22:23], v[24:25]
	s_and_saveexec_b64 s[22:23], vcc
	s_cbranch_execz .LBB1_129
; %bb.127:                              ;   in Loop: Header=BB1_3 Depth=1
	s_mov_b64 s[24:25], 0
.LBB1_128:                              ;   Parent Loop BB1_3 Depth=1
                                        ; =>  This Inner Loop Header: Depth=2
	s_sleep 1
	global_store_dwordx2 v[0:1], v[22:23], off
	v_mov_b32_e32 v20, s20
	v_mov_b32_e32 v21, s21
	buffer_wbl2 sc0 sc1
	s_waitcnt vmcnt(0)
	global_atomic_cmpswap_x2 v[16:17], v3, v[20:23], s[18:19] offset:32 sc0 sc1
	s_waitcnt vmcnt(0)
	v_cmp_eq_u64_e32 vcc, v[16:17], v[22:23]
	s_or_b64 s[24:25], vcc, s[24:25]
	v_mov_b64_e32 v[22:23], v[16:17]
	s_andn2_b64 exec, exec, s[24:25]
	s_cbranch_execnz .LBB1_128
.LBB1_129:                              ;   in Loop: Header=BB1_3 Depth=1
	s_or_b64 exec, exec, s[22:23]
	global_load_dwordx2 v[0:1], v3, s[18:19] offset:16
	s_mov_b64 s[24:25], exec
	v_mbcnt_lo_u32_b32 v2, s24, 0
	v_mbcnt_hi_u32_b32 v2, s25, v2
	v_cmp_eq_u32_e32 vcc, 0, v2
	s_and_saveexec_b64 s[22:23], vcc
	s_cbranch_execz .LBB1_131
; %bb.130:                              ;   in Loop: Header=BB1_3 Depth=1
	s_bcnt1_i32_b64 s5, s[24:25]
	v_mov_b32_e32 v2, s5
	buffer_wbl2 sc0 sc1
	s_waitcnt vmcnt(0)
	global_atomic_add_x2 v[0:1], v[2:3], off offset:8 sc1
.LBB1_131:                              ;   in Loop: Header=BB1_3 Depth=1
	s_or_b64 exec, exec, s[22:23]
	s_waitcnt vmcnt(0)
	global_load_dwordx2 v[16:17], v[0:1], off offset:16
	s_waitcnt vmcnt(0)
	v_cmp_eq_u64_e32 vcc, 0, v[16:17]
	s_cbranch_vccnz .LBB1_133
; %bb.132:                              ;   in Loop: Header=BB1_3 Depth=1
	global_load_dword v2, v[0:1], off offset:24
	s_waitcnt vmcnt(0)
	v_readfirstlane_b32 s5, v2
	s_and_b32 m0, s5, 0xffffff
	buffer_wbl2 sc0 sc1
	global_store_dwordx2 v[16:17], v[2:3], off sc0 sc1
	s_sendmsg sendmsg(MSG_INTERRUPT)
.LBB1_133:                              ;   in Loop: Header=BB1_3 Depth=1
	s_or_b64 exec, exec, s[6:7]
	v_mov_b32_e32 v43, v3
	v_lshl_add_u64 v[0:1], v[4:5], 0, v[42:43]
	s_branch .LBB1_137
.LBB1_134:                              ;   in Loop: Header=BB1_137 Depth=2
	s_or_b64 exec, exec, s[6:7]
	v_readfirstlane_b32 s5, v2
	s_cmp_eq_u32 s5, 0
	s_cbranch_scc1 .LBB1_136
; %bb.135:                              ;   in Loop: Header=BB1_137 Depth=2
	s_sleep 1
	s_cbranch_execnz .LBB1_137
	s_branch .LBB1_139
.LBB1_136:                              ;   in Loop: Header=BB1_3 Depth=1
	s_branch .LBB1_139
.LBB1_137:                              ;   Parent Loop BB1_3 Depth=1
                                        ; =>  This Inner Loop Header: Depth=2
	v_mov_b32_e32 v2, 1
	s_and_saveexec_b64 s[6:7], s[0:1]
	s_cbranch_execz .LBB1_134
; %bb.138:                              ;   in Loop: Header=BB1_137 Depth=2
	global_load_dword v2, v[12:13], off offset:20 sc0 sc1
	s_waitcnt vmcnt(0)
	buffer_inv sc0 sc1
	v_and_b32_e32 v2, 1, v2
	s_branch .LBB1_134
.LBB1_139:                              ;   in Loop: Header=BB1_3 Depth=1
	global_load_dwordx2 v[20:21], v[0:1], off
	s_and_saveexec_b64 s[6:7], s[0:1]
	s_cbranch_execz .LBB1_143
; %bb.140:                              ;   in Loop: Header=BB1_3 Depth=1
	global_load_dwordx2 v[0:1], v3, s[18:19] offset:40
	global_load_dwordx2 v[26:27], v3, s[18:19] offset:24 sc0 sc1
	global_load_dwordx2 v[4:5], v3, s[18:19]
	s_waitcnt vmcnt(2)
	v_readfirstlane_b32 s22, v0
	v_readfirstlane_b32 s23, v1
	s_add_u32 s5, s22, 1
	s_addc_u32 s24, s23, 0
	s_add_u32 s0, s5, s20
	s_addc_u32 s1, s24, s21
	s_cmp_eq_u64 s[0:1], 0
	s_cselect_b32 s1, s24, s1
	s_cselect_b32 s0, s5, s0
	s_and_b64 s[20:21], s[0:1], s[22:23]
	s_mul_i32 s5, s21, 24
	s_mul_hi_u32 s21, s20, 24
	s_mul_i32 s20, s20, 24
	s_add_i32 s21, s21, s5
	s_waitcnt vmcnt(0)
	v_lshl_add_u64 v[0:1], v[4:5], 0, s[20:21]
	v_mov_b32_e32 v24, s0
	global_store_dwordx2 v[0:1], v[26:27], off
	v_mov_b32_e32 v25, s1
	buffer_wbl2 sc0 sc1
	s_waitcnt vmcnt(0)
	global_atomic_cmpswap_x2 v[24:25], v3, v[24:27], s[18:19] offset:24 sc0 sc1
	s_waitcnt vmcnt(0)
	v_cmp_ne_u64_e32 vcc, v[24:25], v[26:27]
	s_and_b64 exec, exec, vcc
	s_cbranch_execz .LBB1_143
; %bb.141:                              ;   in Loop: Header=BB1_3 Depth=1
	s_mov_b64 s[20:21], 0
.LBB1_142:                              ;   Parent Loop BB1_3 Depth=1
                                        ; =>  This Inner Loop Header: Depth=2
	s_sleep 1
	global_store_dwordx2 v[0:1], v[24:25], off
	v_mov_b32_e32 v22, s0
	v_mov_b32_e32 v23, s1
	buffer_wbl2 sc0 sc1
	s_waitcnt vmcnt(0)
	global_atomic_cmpswap_x2 v[4:5], v3, v[22:25], s[18:19] offset:24 sc0 sc1
	s_waitcnt vmcnt(0)
	v_cmp_eq_u64_e32 vcc, v[4:5], v[24:25]
	s_or_b64 s[20:21], vcc, s[20:21]
	v_mov_b64_e32 v[24:25], v[4:5]
	s_andn2_b64 exec, exec, s[20:21]
	s_cbranch_execnz .LBB1_142
.LBB1_143:                              ;   in Loop: Header=BB1_3 Depth=1
	s_or_b64 exec, exec, s[6:7]
.LBB1_144:                              ;   in Loop: Header=BB1_3 Depth=1
	v_readfirstlane_b32 s0, v44
	s_waitcnt vmcnt(0)
	v_mov_b64_e32 v[0:1], 0
	v_cmp_eq_u32_e64 s[0:1], s0, v44
	s_and_saveexec_b64 s[6:7], s[0:1]
	s_cbranch_execz .LBB1_150
; %bb.145:                              ;   in Loop: Header=BB1_3 Depth=1
	global_load_dwordx2 v[24:25], v3, s[18:19] offset:24 sc0 sc1
	s_waitcnt vmcnt(0)
	buffer_inv sc0 sc1
	global_load_dwordx2 v[0:1], v3, s[18:19] offset:40
	global_load_dwordx2 v[4:5], v3, s[18:19]
	s_waitcnt vmcnt(1)
	v_and_b32_e32 v0, v0, v24
	v_and_b32_e32 v1, v1, v25
	v_mul_lo_u32 v1, v1, 24
	v_mul_hi_u32 v2, v0, 24
	v_add_u32_e32 v1, v2, v1
	v_mul_lo_u32 v0, v0, 24
	s_waitcnt vmcnt(0)
	v_lshl_add_u64 v[0:1], v[4:5], 0, v[0:1]
	global_load_dwordx2 v[22:23], v[0:1], off sc0 sc1
	s_waitcnt vmcnt(0)
	global_atomic_cmpswap_x2 v[0:1], v3, v[22:25], s[18:19] offset:24 sc0 sc1
	s_waitcnt vmcnt(0)
	buffer_inv sc0 sc1
	v_cmp_ne_u64_e32 vcc, v[0:1], v[24:25]
	s_and_saveexec_b64 s[20:21], vcc
	s_cbranch_execz .LBB1_149
; %bb.146:                              ;   in Loop: Header=BB1_3 Depth=1
	s_mov_b64 s[22:23], 0
.LBB1_147:                              ;   Parent Loop BB1_3 Depth=1
                                        ; =>  This Inner Loop Header: Depth=2
	s_sleep 1
	global_load_dwordx2 v[4:5], v3, s[18:19] offset:40
	global_load_dwordx2 v[12:13], v3, s[18:19]
	v_mov_b64_e32 v[24:25], v[0:1]
	s_waitcnt vmcnt(1)
	v_and_b32_e32 v0, v4, v24
	s_waitcnt vmcnt(0)
	v_mad_u64_u32 v[0:1], s[24:25], v0, 24, v[12:13]
	v_and_b32_e32 v5, v5, v25
	v_mov_b32_e32 v2, v1
	v_mad_u64_u32 v[4:5], s[24:25], v5, 24, v[2:3]
	v_mov_b32_e32 v1, v4
	global_load_dwordx2 v[22:23], v[0:1], off sc0 sc1
	s_waitcnt vmcnt(0)
	global_atomic_cmpswap_x2 v[0:1], v3, v[22:25], s[18:19] offset:24 sc0 sc1
	s_waitcnt vmcnt(0)
	buffer_inv sc0 sc1
	v_cmp_eq_u64_e32 vcc, v[0:1], v[24:25]
	s_or_b64 s[22:23], vcc, s[22:23]
	s_andn2_b64 exec, exec, s[22:23]
	s_cbranch_execnz .LBB1_147
; %bb.148:                              ;   in Loop: Header=BB1_3 Depth=1
	s_or_b64 exec, exec, s[22:23]
.LBB1_149:                              ;   in Loop: Header=BB1_3 Depth=1
	s_or_b64 exec, exec, s[20:21]
.LBB1_150:                              ;   in Loop: Header=BB1_3 Depth=1
	s_or_b64 exec, exec, s[6:7]
	global_load_dwordx2 v[4:5], v3, s[18:19] offset:40
	global_load_dwordx4 v[24:27], v3, s[18:19]
	v_readfirstlane_b32 s21, v1
	v_readfirstlane_b32 s20, v0
	s_mov_b64 s[6:7], exec
	s_waitcnt vmcnt(1)
	v_readfirstlane_b32 s22, v4
	v_readfirstlane_b32 s23, v5
	s_and_b64 s[22:23], s[22:23], s[20:21]
	s_mul_i32 s5, s23, 24
	s_mul_hi_u32 s24, s22, 24
	s_add_i32 s25, s24, s5
	s_mul_i32 s24, s22, 24
	s_waitcnt vmcnt(0)
	v_lshl_add_u64 v[0:1], v[24:25], 0, s[24:25]
	s_and_saveexec_b64 s[24:25], s[0:1]
	s_cbranch_execz .LBB1_152
; %bb.151:                              ;   in Loop: Header=BB1_3 Depth=1
	v_mov_b64_e32 v[4:5], s[6:7]
	global_store_dwordx4 v[0:1], v[4:7], off offset:8
.LBB1_152:                              ;   in Loop: Header=BB1_3 Depth=1
	s_or_b64 exec, exec, s[24:25]
	s_lshl_b64 s[6:7], s[22:23], 12
	v_lshl_add_u64 v[4:5], v[26:27], 0, s[6:7]
	v_and_or_b32 v20, v20, s34, 32
	v_mov_b32_e32 v22, v40
	v_mov_b32_e32 v23, v3
	v_readfirstlane_b32 s22, v4
	v_readfirstlane_b32 s23, v5
	s_mov_b32 s6, s4
	s_mov_b32 s7, s4
	s_mov_b32 s5, s4
	s_nop 1
	global_store_dwordx4 v42, v[20:23], s[22:23]
	s_nop 1
	v_mov_b64_e32 v[22:23], s[6:7]
	v_mov_b64_e32 v[20:21], s[4:5]
	global_store_dwordx4 v42, v[20:23], s[22:23] offset:16
	global_store_dwordx4 v42, v[20:23], s[22:23] offset:32
	;; [unrolled: 1-line block ×3, first 2 shown]
	s_and_saveexec_b64 s[6:7], s[0:1]
	s_cbranch_execz .LBB1_160
; %bb.153:                              ;   in Loop: Header=BB1_3 Depth=1
	global_load_dwordx2 v[28:29], v3, s[18:19] offset:32 sc0 sc1
	global_load_dwordx2 v[12:13], v3, s[18:19] offset:40
	v_mov_b32_e32 v26, s20
	v_mov_b32_e32 v27, s21
	s_waitcnt vmcnt(0)
	v_readfirstlane_b32 s22, v12
	v_readfirstlane_b32 s23, v13
	s_and_b64 s[22:23], s[22:23], s[20:21]
	s_mul_i32 s5, s23, 24
	s_mul_hi_u32 s23, s22, 24
	s_mul_i32 s22, s22, 24
	s_add_i32 s23, s23, s5
	v_lshl_add_u64 v[12:13], v[24:25], 0, s[22:23]
	global_store_dwordx2 v[12:13], v[28:29], off
	buffer_wbl2 sc0 sc1
	s_waitcnt vmcnt(0)
	global_atomic_cmpswap_x2 v[22:23], v3, v[26:29], s[18:19] offset:32 sc0 sc1
	s_waitcnt vmcnt(0)
	v_cmp_ne_u64_e32 vcc, v[22:23], v[28:29]
	s_and_saveexec_b64 s[22:23], vcc
	s_cbranch_execz .LBB1_156
; %bb.154:                              ;   in Loop: Header=BB1_3 Depth=1
	s_mov_b64 s[24:25], 0
.LBB1_155:                              ;   Parent Loop BB1_3 Depth=1
                                        ; =>  This Inner Loop Header: Depth=2
	s_sleep 1
	global_store_dwordx2 v[12:13], v[22:23], off
	v_mov_b32_e32 v20, s20
	v_mov_b32_e32 v21, s21
	buffer_wbl2 sc0 sc1
	s_waitcnt vmcnt(0)
	global_atomic_cmpswap_x2 v[16:17], v3, v[20:23], s[18:19] offset:32 sc0 sc1
	s_waitcnt vmcnt(0)
	v_cmp_eq_u64_e32 vcc, v[16:17], v[22:23]
	s_or_b64 s[24:25], vcc, s[24:25]
	v_mov_b64_e32 v[22:23], v[16:17]
	s_andn2_b64 exec, exec, s[24:25]
	s_cbranch_execnz .LBB1_155
.LBB1_156:                              ;   in Loop: Header=BB1_3 Depth=1
	s_or_b64 exec, exec, s[22:23]
	global_load_dwordx2 v[12:13], v3, s[18:19] offset:16
	s_mov_b64 s[24:25], exec
	v_mbcnt_lo_u32_b32 v2, s24, 0
	v_mbcnt_hi_u32_b32 v2, s25, v2
	v_cmp_eq_u32_e32 vcc, 0, v2
	s_and_saveexec_b64 s[22:23], vcc
	s_cbranch_execz .LBB1_158
; %bb.157:                              ;   in Loop: Header=BB1_3 Depth=1
	s_bcnt1_i32_b64 s5, s[24:25]
	v_mov_b32_e32 v2, s5
	buffer_wbl2 sc0 sc1
	s_waitcnt vmcnt(0)
	global_atomic_add_x2 v[12:13], v[2:3], off offset:8 sc1
.LBB1_158:                              ;   in Loop: Header=BB1_3 Depth=1
	s_or_b64 exec, exec, s[22:23]
	s_waitcnt vmcnt(0)
	global_load_dwordx2 v[16:17], v[12:13], off offset:16
	s_waitcnt vmcnt(0)
	v_cmp_eq_u64_e32 vcc, 0, v[16:17]
	s_cbranch_vccnz .LBB1_160
; %bb.159:                              ;   in Loop: Header=BB1_3 Depth=1
	global_load_dword v2, v[12:13], off offset:24
	s_waitcnt vmcnt(0)
	v_readfirstlane_b32 s5, v2
	s_and_b32 m0, s5, 0xffffff
	buffer_wbl2 sc0 sc1
	global_store_dwordx2 v[16:17], v[2:3], off sc0 sc1
	s_sendmsg sendmsg(MSG_INTERRUPT)
.LBB1_160:                              ;   in Loop: Header=BB1_3 Depth=1
	s_or_b64 exec, exec, s[6:7]
	v_mov_b32_e32 v43, v3
	v_lshl_add_u64 v[4:5], v[4:5], 0, v[42:43]
	s_branch .LBB1_164
.LBB1_161:                              ;   in Loop: Header=BB1_164 Depth=2
	s_or_b64 exec, exec, s[6:7]
	v_readfirstlane_b32 s5, v2
	s_cmp_eq_u32 s5, 0
	s_cbranch_scc1 .LBB1_163
; %bb.162:                              ;   in Loop: Header=BB1_164 Depth=2
	s_sleep 1
	s_cbranch_execnz .LBB1_164
	s_branch .LBB1_166
.LBB1_163:                              ;   in Loop: Header=BB1_3 Depth=1
	s_branch .LBB1_166
.LBB1_164:                              ;   Parent Loop BB1_3 Depth=1
                                        ; =>  This Inner Loop Header: Depth=2
	v_mov_b32_e32 v2, 1
	s_and_saveexec_b64 s[6:7], s[0:1]
	s_cbranch_execz .LBB1_161
; %bb.165:                              ;   in Loop: Header=BB1_164 Depth=2
	global_load_dword v2, v[0:1], off offset:20 sc0 sc1
	s_waitcnt vmcnt(0)
	buffer_inv sc0 sc1
	v_and_b32_e32 v2, 1, v2
	s_branch .LBB1_161
.LBB1_166:                              ;   in Loop: Header=BB1_3 Depth=1
	global_load_dwordx2 v[16:17], v[4:5], off
	s_and_saveexec_b64 s[6:7], s[0:1]
	s_cbranch_execz .LBB1_170
; %bb.167:                              ;   in Loop: Header=BB1_3 Depth=1
	global_load_dwordx2 v[0:1], v3, s[18:19] offset:40
	global_load_dwordx2 v[24:25], v3, s[18:19] offset:24 sc0 sc1
	global_load_dwordx2 v[4:5], v3, s[18:19]
	s_waitcnt vmcnt(2)
	v_readfirstlane_b32 s22, v0
	v_readfirstlane_b32 s23, v1
	s_add_u32 s5, s22, 1
	s_addc_u32 s24, s23, 0
	s_add_u32 s0, s5, s20
	s_addc_u32 s1, s24, s21
	s_cmp_eq_u64 s[0:1], 0
	s_cselect_b32 s1, s24, s1
	s_cselect_b32 s0, s5, s0
	s_and_b64 s[20:21], s[0:1], s[22:23]
	s_mul_i32 s5, s21, 24
	s_mul_hi_u32 s21, s20, 24
	s_mul_i32 s20, s20, 24
	s_add_i32 s21, s21, s5
	s_waitcnt vmcnt(0)
	v_lshl_add_u64 v[0:1], v[4:5], 0, s[20:21]
	v_mov_b32_e32 v22, s0
	global_store_dwordx2 v[0:1], v[24:25], off
	v_mov_b32_e32 v23, s1
	buffer_wbl2 sc0 sc1
	s_waitcnt vmcnt(0)
	global_atomic_cmpswap_x2 v[22:23], v3, v[22:25], s[18:19] offset:24 sc0 sc1
	s_waitcnt vmcnt(0)
	v_cmp_ne_u64_e32 vcc, v[22:23], v[24:25]
	s_and_b64 exec, exec, vcc
	s_cbranch_execz .LBB1_170
; %bb.168:                              ;   in Loop: Header=BB1_3 Depth=1
	s_mov_b64 s[20:21], 0
.LBB1_169:                              ;   Parent Loop BB1_3 Depth=1
                                        ; =>  This Inner Loop Header: Depth=2
	s_sleep 1
	global_store_dwordx2 v[0:1], v[22:23], off
	v_mov_b32_e32 v20, s0
	v_mov_b32_e32 v21, s1
	buffer_wbl2 sc0 sc1
	s_waitcnt vmcnt(0)
	global_atomic_cmpswap_x2 v[4:5], v3, v[20:23], s[18:19] offset:24 sc0 sc1
	s_waitcnt vmcnt(0)
	v_cmp_eq_u64_e32 vcc, v[4:5], v[22:23]
	s_or_b64 s[20:21], vcc, s[20:21]
	v_mov_b64_e32 v[22:23], v[4:5]
	s_andn2_b64 exec, exec, s[20:21]
	s_cbranch_execnz .LBB1_169
.LBB1_170:                              ;   in Loop: Header=BB1_3 Depth=1
	s_or_b64 exec, exec, s[6:7]
	v_readfirstlane_b32 s0, v44
	v_mov_b64_e32 v[0:1], 0
	s_nop 0
	v_cmp_eq_u32_e64 s[0:1], s0, v44
	s_and_saveexec_b64 s[6:7], s[0:1]
	s_cbranch_execz .LBB1_176
; %bb.171:                              ;   in Loop: Header=BB1_3 Depth=1
	global_load_dwordx2 v[22:23], v3, s[18:19] offset:24 sc0 sc1
	s_waitcnt vmcnt(0)
	buffer_inv sc0 sc1
	global_load_dwordx2 v[0:1], v3, s[18:19] offset:40
	global_load_dwordx2 v[4:5], v3, s[18:19]
	s_waitcnt vmcnt(1)
	v_and_b32_e32 v0, v0, v22
	v_and_b32_e32 v1, v1, v23
	v_mul_lo_u32 v1, v1, 24
	v_mul_hi_u32 v2, v0, 24
	v_add_u32_e32 v1, v2, v1
	v_mul_lo_u32 v0, v0, 24
	s_waitcnt vmcnt(0)
	v_lshl_add_u64 v[0:1], v[4:5], 0, v[0:1]
	global_load_dwordx2 v[20:21], v[0:1], off sc0 sc1
	s_waitcnt vmcnt(0)
	global_atomic_cmpswap_x2 v[0:1], v3, v[20:23], s[18:19] offset:24 sc0 sc1
	s_waitcnt vmcnt(0)
	buffer_inv sc0 sc1
	v_cmp_ne_u64_e32 vcc, v[0:1], v[22:23]
	s_and_saveexec_b64 s[20:21], vcc
	s_cbranch_execz .LBB1_175
; %bb.172:                              ;   in Loop: Header=BB1_3 Depth=1
	s_mov_b64 s[22:23], 0
.LBB1_173:                              ;   Parent Loop BB1_3 Depth=1
                                        ; =>  This Inner Loop Header: Depth=2
	s_sleep 1
	global_load_dwordx2 v[4:5], v3, s[18:19] offset:40
	global_load_dwordx2 v[12:13], v3, s[18:19]
	v_mov_b64_e32 v[22:23], v[0:1]
	s_waitcnt vmcnt(1)
	v_and_b32_e32 v0, v4, v22
	s_waitcnt vmcnt(0)
	v_mad_u64_u32 v[0:1], s[24:25], v0, 24, v[12:13]
	v_and_b32_e32 v5, v5, v23
	v_mov_b32_e32 v2, v1
	v_mad_u64_u32 v[4:5], s[24:25], v5, 24, v[2:3]
	v_mov_b32_e32 v1, v4
	global_load_dwordx2 v[20:21], v[0:1], off sc0 sc1
	s_waitcnt vmcnt(0)
	global_atomic_cmpswap_x2 v[0:1], v3, v[20:23], s[18:19] offset:24 sc0 sc1
	s_waitcnt vmcnt(0)
	buffer_inv sc0 sc1
	v_cmp_eq_u64_e32 vcc, v[0:1], v[22:23]
	s_or_b64 s[22:23], vcc, s[22:23]
	s_andn2_b64 exec, exec, s[22:23]
	s_cbranch_execnz .LBB1_173
; %bb.174:                              ;   in Loop: Header=BB1_3 Depth=1
	s_or_b64 exec, exec, s[22:23]
.LBB1_175:                              ;   in Loop: Header=BB1_3 Depth=1
	s_or_b64 exec, exec, s[20:21]
.LBB1_176:                              ;   in Loop: Header=BB1_3 Depth=1
	s_or_b64 exec, exec, s[6:7]
	global_load_dwordx2 v[4:5], v3, s[18:19] offset:40
	global_load_dwordx4 v[20:23], v3, s[18:19]
	v_readfirstlane_b32 s21, v1
	v_readfirstlane_b32 s20, v0
	s_mov_b64 s[6:7], exec
	s_waitcnt vmcnt(1)
	v_readfirstlane_b32 s22, v4
	v_readfirstlane_b32 s23, v5
	s_and_b64 s[22:23], s[22:23], s[20:21]
	s_mul_i32 s5, s23, 24
	s_mul_hi_u32 s24, s22, 24
	s_add_i32 s25, s24, s5
	s_mul_i32 s24, s22, 24
	s_waitcnt vmcnt(0)
	v_lshl_add_u64 v[0:1], v[20:21], 0, s[24:25]
	s_and_saveexec_b64 s[24:25], s[0:1]
	s_cbranch_execz .LBB1_178
; %bb.177:                              ;   in Loop: Header=BB1_3 Depth=1
	v_mov_b64_e32 v[4:5], s[6:7]
	global_store_dwordx4 v[0:1], v[4:7], off offset:8
.LBB1_178:                              ;   in Loop: Header=BB1_3 Depth=1
	s_or_b64 exec, exec, s[24:25]
	s_lshl_b64 s[6:7], s[22:23], 12
	v_lshl_add_u64 v[4:5], v[22:23], 0, s[6:7]
	v_and_or_b32 v16, v16, s34, 32
	v_mov_b32_e32 v19, v3
	v_readfirstlane_b32 s22, v4
	v_readfirstlane_b32 s23, v5
	s_mov_b32 s6, s4
	s_mov_b32 s7, s4
	;; [unrolled: 1-line block ×3, first 2 shown]
	s_nop 1
	global_store_dwordx4 v42, v[16:19], s[22:23]
	s_nop 1
	v_mov_b64_e32 v[18:19], s[6:7]
	v_mov_b64_e32 v[16:17], s[4:5]
	global_store_dwordx4 v42, v[16:19], s[22:23] offset:16
	global_store_dwordx4 v42, v[16:19], s[22:23] offset:32
	;; [unrolled: 1-line block ×3, first 2 shown]
	s_and_saveexec_b64 s[6:7], s[0:1]
	s_cbranch_execz .LBB1_186
; %bb.179:                              ;   in Loop: Header=BB1_3 Depth=1
	global_load_dwordx2 v[24:25], v3, s[18:19] offset:32 sc0 sc1
	global_load_dwordx2 v[12:13], v3, s[18:19] offset:40
	v_mov_b32_e32 v22, s20
	v_mov_b32_e32 v23, s21
	s_waitcnt vmcnt(0)
	v_readfirstlane_b32 s22, v12
	v_readfirstlane_b32 s23, v13
	s_and_b64 s[22:23], s[22:23], s[20:21]
	s_mul_i32 s5, s23, 24
	s_mul_hi_u32 s23, s22, 24
	s_mul_i32 s22, s22, 24
	s_add_i32 s23, s23, s5
	v_lshl_add_u64 v[12:13], v[20:21], 0, s[22:23]
	global_store_dwordx2 v[12:13], v[24:25], off
	buffer_wbl2 sc0 sc1
	s_waitcnt vmcnt(0)
	global_atomic_cmpswap_x2 v[18:19], v3, v[22:25], s[18:19] offset:32 sc0 sc1
	s_waitcnt vmcnt(0)
	v_cmp_ne_u64_e32 vcc, v[18:19], v[24:25]
	s_and_saveexec_b64 s[22:23], vcc
	s_cbranch_execz .LBB1_182
; %bb.180:                              ;   in Loop: Header=BB1_3 Depth=1
	s_mov_b64 s[24:25], 0
.LBB1_181:                              ;   Parent Loop BB1_3 Depth=1
                                        ; =>  This Inner Loop Header: Depth=2
	s_sleep 1
	global_store_dwordx2 v[12:13], v[18:19], off
	v_mov_b32_e32 v16, s20
	v_mov_b32_e32 v17, s21
	buffer_wbl2 sc0 sc1
	s_waitcnt vmcnt(0)
	global_atomic_cmpswap_x2 v[16:17], v3, v[16:19], s[18:19] offset:32 sc0 sc1
	s_waitcnt vmcnt(0)
	v_cmp_eq_u64_e32 vcc, v[16:17], v[18:19]
	s_or_b64 s[24:25], vcc, s[24:25]
	v_mov_b64_e32 v[18:19], v[16:17]
	s_andn2_b64 exec, exec, s[24:25]
	s_cbranch_execnz .LBB1_181
.LBB1_182:                              ;   in Loop: Header=BB1_3 Depth=1
	s_or_b64 exec, exec, s[22:23]
	global_load_dwordx2 v[12:13], v3, s[18:19] offset:16
	s_mov_b64 s[24:25], exec
	v_mbcnt_lo_u32_b32 v2, s24, 0
	v_mbcnt_hi_u32_b32 v2, s25, v2
	v_cmp_eq_u32_e32 vcc, 0, v2
	s_and_saveexec_b64 s[22:23], vcc
	s_cbranch_execz .LBB1_184
; %bb.183:                              ;   in Loop: Header=BB1_3 Depth=1
	s_bcnt1_i32_b64 s5, s[24:25]
	v_mov_b32_e32 v2, s5
	buffer_wbl2 sc0 sc1
	s_waitcnt vmcnt(0)
	global_atomic_add_x2 v[12:13], v[2:3], off offset:8 sc1
.LBB1_184:                              ;   in Loop: Header=BB1_3 Depth=1
	s_or_b64 exec, exec, s[22:23]
	s_waitcnt vmcnt(0)
	global_load_dwordx2 v[16:17], v[12:13], off offset:16
	s_waitcnt vmcnt(0)
	v_cmp_eq_u64_e32 vcc, 0, v[16:17]
	s_cbranch_vccnz .LBB1_186
; %bb.185:                              ;   in Loop: Header=BB1_3 Depth=1
	global_load_dword v2, v[12:13], off offset:24
	s_waitcnt vmcnt(0)
	v_readfirstlane_b32 s5, v2
	s_and_b32 m0, s5, 0xffffff
	buffer_wbl2 sc0 sc1
	global_store_dwordx2 v[16:17], v[2:3], off sc0 sc1
	s_sendmsg sendmsg(MSG_INTERRUPT)
.LBB1_186:                              ;   in Loop: Header=BB1_3 Depth=1
	s_or_b64 exec, exec, s[6:7]
	v_mov_b32_e32 v43, v3
	v_lshl_add_u64 v[4:5], v[4:5], 0, v[42:43]
	s_branch .LBB1_190
.LBB1_187:                              ;   in Loop: Header=BB1_190 Depth=2
	s_or_b64 exec, exec, s[6:7]
	v_readfirstlane_b32 s5, v2
	s_cmp_eq_u32 s5, 0
	s_cbranch_scc1 .LBB1_189
; %bb.188:                              ;   in Loop: Header=BB1_190 Depth=2
	s_sleep 1
	s_cbranch_execnz .LBB1_190
	s_branch .LBB1_192
.LBB1_189:                              ;   in Loop: Header=BB1_3 Depth=1
	s_branch .LBB1_192
.LBB1_190:                              ;   Parent Loop BB1_3 Depth=1
                                        ; =>  This Inner Loop Header: Depth=2
	v_mov_b32_e32 v2, 1
	s_and_saveexec_b64 s[6:7], s[0:1]
	s_cbranch_execz .LBB1_187
; %bb.191:                              ;   in Loop: Header=BB1_190 Depth=2
	global_load_dword v2, v[0:1], off offset:20 sc0 sc1
	s_waitcnt vmcnt(0)
	buffer_inv sc0 sc1
	v_and_b32_e32 v2, 1, v2
	s_branch .LBB1_187
.LBB1_192:                              ;   in Loop: Header=BB1_3 Depth=1
	global_load_dwordx2 v[12:13], v[4:5], off
	s_and_saveexec_b64 s[6:7], s[0:1]
	s_cbranch_execz .LBB1_196
; %bb.193:                              ;   in Loop: Header=BB1_3 Depth=1
	global_load_dwordx2 v[0:1], v3, s[18:19] offset:40
	global_load_dwordx2 v[20:21], v3, s[18:19] offset:24 sc0 sc1
	global_load_dwordx2 v[4:5], v3, s[18:19]
	s_waitcnt vmcnt(2)
	v_readfirstlane_b32 s22, v0
	v_readfirstlane_b32 s23, v1
	s_add_u32 s5, s22, 1
	s_addc_u32 s24, s23, 0
	s_add_u32 s0, s5, s20
	s_addc_u32 s1, s24, s21
	s_cmp_eq_u64 s[0:1], 0
	s_cselect_b32 s1, s24, s1
	s_cselect_b32 s0, s5, s0
	s_and_b64 s[20:21], s[0:1], s[22:23]
	s_mul_i32 s5, s21, 24
	s_mul_hi_u32 s21, s20, 24
	s_mul_i32 s20, s20, 24
	s_add_i32 s21, s21, s5
	s_waitcnt vmcnt(0)
	v_lshl_add_u64 v[0:1], v[4:5], 0, s[20:21]
	v_mov_b32_e32 v18, s0
	global_store_dwordx2 v[0:1], v[20:21], off
	v_mov_b32_e32 v19, s1
	buffer_wbl2 sc0 sc1
	s_waitcnt vmcnt(0)
	global_atomic_cmpswap_x2 v[18:19], v3, v[18:21], s[18:19] offset:24 sc0 sc1
	s_waitcnt vmcnt(0)
	v_cmp_ne_u64_e32 vcc, v[18:19], v[20:21]
	s_and_b64 exec, exec, vcc
	s_cbranch_execz .LBB1_196
; %bb.194:                              ;   in Loop: Header=BB1_3 Depth=1
	s_mov_b64 s[20:21], 0
.LBB1_195:                              ;   Parent Loop BB1_3 Depth=1
                                        ; =>  This Inner Loop Header: Depth=2
	s_sleep 1
	global_store_dwordx2 v[0:1], v[18:19], off
	v_mov_b32_e32 v16, s0
	v_mov_b32_e32 v17, s1
	buffer_wbl2 sc0 sc1
	s_waitcnt vmcnt(0)
	global_atomic_cmpswap_x2 v[4:5], v3, v[16:19], s[18:19] offset:24 sc0 sc1
	s_waitcnt vmcnt(0)
	v_cmp_eq_u64_e32 vcc, v[4:5], v[18:19]
	s_or_b64 s[20:21], vcc, s[20:21]
	v_mov_b64_e32 v[18:19], v[4:5]
	s_andn2_b64 exec, exec, s[20:21]
	s_cbranch_execnz .LBB1_195
.LBB1_196:                              ;   in Loop: Header=BB1_3 Depth=1
	s_or_b64 exec, exec, s[6:7]
	v_readfirstlane_b32 s0, v44
	v_mov_b64_e32 v[0:1], 0
	s_nop 0
	v_cmp_eq_u32_e64 s[0:1], s0, v44
	s_and_saveexec_b64 s[6:7], s[0:1]
	s_cbranch_execz .LBB1_202
; %bb.197:                              ;   in Loop: Header=BB1_3 Depth=1
	global_load_dwordx2 v[18:19], v3, s[18:19] offset:24 sc0 sc1
	s_waitcnt vmcnt(0)
	buffer_inv sc0 sc1
	global_load_dwordx2 v[0:1], v3, s[18:19] offset:40
	global_load_dwordx2 v[4:5], v3, s[18:19]
	s_waitcnt vmcnt(1)
	v_and_b32_e32 v0, v0, v18
	v_and_b32_e32 v1, v1, v19
	v_mul_lo_u32 v1, v1, 24
	v_mul_hi_u32 v2, v0, 24
	v_add_u32_e32 v1, v2, v1
	v_mul_lo_u32 v0, v0, 24
	s_waitcnt vmcnt(0)
	v_lshl_add_u64 v[0:1], v[4:5], 0, v[0:1]
	global_load_dwordx2 v[16:17], v[0:1], off sc0 sc1
	s_waitcnt vmcnt(0)
	global_atomic_cmpswap_x2 v[0:1], v3, v[16:19], s[18:19] offset:24 sc0 sc1
	s_waitcnt vmcnt(0)
	buffer_inv sc0 sc1
	v_cmp_ne_u64_e32 vcc, v[0:1], v[18:19]
	s_and_saveexec_b64 s[20:21], vcc
	s_cbranch_execz .LBB1_201
; %bb.198:                              ;   in Loop: Header=BB1_3 Depth=1
	s_mov_b64 s[22:23], 0
.LBB1_199:                              ;   Parent Loop BB1_3 Depth=1
                                        ; =>  This Inner Loop Header: Depth=2
	s_sleep 1
	global_load_dwordx2 v[4:5], v3, s[18:19] offset:40
	global_load_dwordx2 v[16:17], v3, s[18:19]
	v_mov_b64_e32 v[18:19], v[0:1]
	s_waitcnt vmcnt(1)
	v_and_b32_e32 v0, v4, v18
	s_waitcnt vmcnt(0)
	v_mad_u64_u32 v[0:1], s[24:25], v0, 24, v[16:17]
	v_and_b32_e32 v5, v5, v19
	v_mov_b32_e32 v2, v1
	v_mad_u64_u32 v[4:5], s[24:25], v5, 24, v[2:3]
	v_mov_b32_e32 v1, v4
	global_load_dwordx2 v[16:17], v[0:1], off sc0 sc1
	s_waitcnt vmcnt(0)
	global_atomic_cmpswap_x2 v[0:1], v3, v[16:19], s[18:19] offset:24 sc0 sc1
	s_waitcnt vmcnt(0)
	buffer_inv sc0 sc1
	v_cmp_eq_u64_e32 vcc, v[0:1], v[18:19]
	s_or_b64 s[22:23], vcc, s[22:23]
	s_andn2_b64 exec, exec, s[22:23]
	s_cbranch_execnz .LBB1_199
; %bb.200:                              ;   in Loop: Header=BB1_3 Depth=1
	s_or_b64 exec, exec, s[22:23]
.LBB1_201:                              ;   in Loop: Header=BB1_3 Depth=1
	s_or_b64 exec, exec, s[20:21]
.LBB1_202:                              ;   in Loop: Header=BB1_3 Depth=1
	s_or_b64 exec, exec, s[6:7]
	global_load_dwordx2 v[4:5], v3, s[18:19] offset:40
	global_load_dwordx4 v[16:19], v3, s[18:19]
	v_readfirstlane_b32 s21, v1
	v_readfirstlane_b32 s20, v0
	s_mov_b64 s[6:7], exec
	s_waitcnt vmcnt(1)
	v_readfirstlane_b32 s22, v4
	v_readfirstlane_b32 s23, v5
	s_and_b64 s[22:23], s[22:23], s[20:21]
	s_mul_i32 s5, s23, 24
	s_mul_hi_u32 s24, s22, 24
	s_add_i32 s25, s24, s5
	s_mul_i32 s24, s22, 24
	s_waitcnt vmcnt(0)
	v_lshl_add_u64 v[0:1], v[16:17], 0, s[24:25]
	s_and_saveexec_b64 s[24:25], s[0:1]
	s_cbranch_execz .LBB1_204
; %bb.203:                              ;   in Loop: Header=BB1_3 Depth=1
	v_mov_b64_e32 v[4:5], s[6:7]
	global_store_dwordx4 v[0:1], v[4:7], off offset:8
.LBB1_204:                              ;   in Loop: Header=BB1_3 Depth=1
	s_or_b64 exec, exec, s[24:25]
	s_lshl_b64 s[6:7], s[22:23], 12
	v_lshl_add_u64 v[4:5], v[18:19], 0, s[6:7]
	v_and_or_b32 v12, v12, s35, 34
	v_mov_b32_e32 v15, v3
	v_readfirstlane_b32 s22, v4
	v_readfirstlane_b32 s23, v5
	s_mov_b32 s6, s4
	s_mov_b32 s7, s4
	;; [unrolled: 1-line block ×3, first 2 shown]
	s_nop 1
	global_store_dwordx4 v42, v[12:15], s[22:23]
	s_nop 1
	v_mov_b64_e32 v[14:15], s[6:7]
	v_mov_b64_e32 v[12:13], s[4:5]
	global_store_dwordx4 v42, v[12:15], s[22:23] offset:16
	global_store_dwordx4 v42, v[12:15], s[22:23] offset:32
	;; [unrolled: 1-line block ×3, first 2 shown]
	s_and_saveexec_b64 s[6:7], s[0:1]
	s_cbranch_execz .LBB1_212
; %bb.205:                              ;   in Loop: Header=BB1_3 Depth=1
	global_load_dwordx2 v[20:21], v3, s[18:19] offset:32 sc0 sc1
	global_load_dwordx2 v[4:5], v3, s[18:19] offset:40
	v_mov_b32_e32 v18, s20
	v_mov_b32_e32 v19, s21
	s_waitcnt vmcnt(0)
	v_readfirstlane_b32 s22, v4
	v_readfirstlane_b32 s23, v5
	s_and_b64 s[22:23], s[22:23], s[20:21]
	s_mul_i32 s5, s23, 24
	s_mul_hi_u32 s23, s22, 24
	s_mul_i32 s22, s22, 24
	s_add_i32 s23, s23, s5
	v_lshl_add_u64 v[4:5], v[16:17], 0, s[22:23]
	global_store_dwordx2 v[4:5], v[20:21], off
	buffer_wbl2 sc0 sc1
	s_waitcnt vmcnt(0)
	global_atomic_cmpswap_x2 v[14:15], v3, v[18:21], s[18:19] offset:32 sc0 sc1
	s_waitcnt vmcnt(0)
	v_cmp_ne_u64_e32 vcc, v[14:15], v[20:21]
	s_and_saveexec_b64 s[22:23], vcc
	s_cbranch_execz .LBB1_208
; %bb.206:                              ;   in Loop: Header=BB1_3 Depth=1
	s_mov_b64 s[24:25], 0
.LBB1_207:                              ;   Parent Loop BB1_3 Depth=1
                                        ; =>  This Inner Loop Header: Depth=2
	s_sleep 1
	global_store_dwordx2 v[4:5], v[14:15], off
	v_mov_b32_e32 v12, s20
	v_mov_b32_e32 v13, s21
	buffer_wbl2 sc0 sc1
	s_waitcnt vmcnt(0)
	global_atomic_cmpswap_x2 v[12:13], v3, v[12:15], s[18:19] offset:32 sc0 sc1
	s_waitcnt vmcnt(0)
	v_cmp_eq_u64_e32 vcc, v[12:13], v[14:15]
	s_or_b64 s[24:25], vcc, s[24:25]
	v_mov_b64_e32 v[14:15], v[12:13]
	s_andn2_b64 exec, exec, s[24:25]
	s_cbranch_execnz .LBB1_207
.LBB1_208:                              ;   in Loop: Header=BB1_3 Depth=1
	s_or_b64 exec, exec, s[22:23]
	global_load_dwordx2 v[4:5], v3, s[18:19] offset:16
	s_mov_b64 s[24:25], exec
	v_mbcnt_lo_u32_b32 v2, s24, 0
	v_mbcnt_hi_u32_b32 v2, s25, v2
	v_cmp_eq_u32_e32 vcc, 0, v2
	s_and_saveexec_b64 s[22:23], vcc
	s_cbranch_execz .LBB1_210
; %bb.209:                              ;   in Loop: Header=BB1_3 Depth=1
	s_bcnt1_i32_b64 s5, s[24:25]
	v_mov_b32_e32 v2, s5
	buffer_wbl2 sc0 sc1
	s_waitcnt vmcnt(0)
	global_atomic_add_x2 v[4:5], v[2:3], off offset:8 sc1
.LBB1_210:                              ;   in Loop: Header=BB1_3 Depth=1
	s_or_b64 exec, exec, s[22:23]
	s_waitcnt vmcnt(0)
	global_load_dwordx2 v[12:13], v[4:5], off offset:16
	s_waitcnt vmcnt(0)
	v_cmp_eq_u64_e32 vcc, 0, v[12:13]
	s_cbranch_vccnz .LBB1_212
; %bb.211:                              ;   in Loop: Header=BB1_3 Depth=1
	global_load_dword v2, v[4:5], off offset:24
	s_waitcnt vmcnt(0)
	v_readfirstlane_b32 s5, v2
	s_and_b32 m0, s5, 0xffffff
	buffer_wbl2 sc0 sc1
	global_store_dwordx2 v[12:13], v[2:3], off sc0 sc1
	s_sendmsg sendmsg(MSG_INTERRUPT)
.LBB1_212:                              ;   in Loop: Header=BB1_3 Depth=1
	s_or_b64 exec, exec, s[6:7]
	s_branch .LBB1_216
.LBB1_213:                              ;   in Loop: Header=BB1_216 Depth=2
	s_or_b64 exec, exec, s[6:7]
	v_readfirstlane_b32 s5, v2
	s_cmp_eq_u32 s5, 0
	s_cbranch_scc1 .LBB1_215
; %bb.214:                              ;   in Loop: Header=BB1_216 Depth=2
	s_sleep 1
	s_cbranch_execnz .LBB1_216
	s_branch .LBB1_218
.LBB1_215:                              ;   in Loop: Header=BB1_3 Depth=1
	s_branch .LBB1_218
.LBB1_216:                              ;   Parent Loop BB1_3 Depth=1
                                        ; =>  This Inner Loop Header: Depth=2
	v_mov_b32_e32 v2, 1
	s_and_saveexec_b64 s[6:7], s[0:1]
	s_cbranch_execz .LBB1_213
; %bb.217:                              ;   in Loop: Header=BB1_216 Depth=2
	global_load_dword v2, v[0:1], off offset:20 sc0 sc1
	s_waitcnt vmcnt(0)
	buffer_inv sc0 sc1
	v_and_b32_e32 v2, 1, v2
	s_branch .LBB1_213
.LBB1_218:                              ;   in Loop: Header=BB1_3 Depth=1
	s_and_b64 exec, exec, s[0:1]
	s_cbranch_execz .LBB1_2
; %bb.219:                              ;   in Loop: Header=BB1_3 Depth=1
	global_load_dwordx2 v[0:1], v3, s[18:19] offset:40
	global_load_dwordx2 v[16:17], v3, s[18:19] offset:24 sc0 sc1
	global_load_dwordx2 v[4:5], v3, s[18:19]
	s_waitcnt vmcnt(2)
	v_readfirstlane_b32 s6, v0
	v_readfirstlane_b32 s7, v1
	s_add_u32 s5, s6, 1
	s_addc_u32 s22, s7, 0
	s_add_u32 s0, s5, s20
	s_addc_u32 s1, s22, s21
	s_cmp_eq_u64 s[0:1], 0
	s_cselect_b32 s1, s22, s1
	s_cselect_b32 s0, s5, s0
	s_and_b64 s[6:7], s[0:1], s[6:7]
	s_mul_i32 s5, s7, 24
	s_mul_hi_u32 s7, s6, 24
	s_mul_i32 s6, s6, 24
	s_add_i32 s7, s7, s5
	s_waitcnt vmcnt(0)
	v_lshl_add_u64 v[0:1], v[4:5], 0, s[6:7]
	v_mov_b32_e32 v14, s0
	global_store_dwordx2 v[0:1], v[16:17], off
	v_mov_b32_e32 v15, s1
	buffer_wbl2 sc0 sc1
	s_waitcnt vmcnt(0)
	global_atomic_cmpswap_x2 v[14:15], v3, v[14:17], s[18:19] offset:24 sc0 sc1
	s_waitcnt vmcnt(0)
	v_cmp_ne_u64_e32 vcc, v[14:15], v[16:17]
	s_and_b64 exec, exec, vcc
	s_cbranch_execz .LBB1_2
; %bb.220:                              ;   in Loop: Header=BB1_3 Depth=1
	s_mov_b64 s[6:7], 0
.LBB1_221:                              ;   Parent Loop BB1_3 Depth=1
                                        ; =>  This Inner Loop Header: Depth=2
	s_sleep 1
	global_store_dwordx2 v[0:1], v[14:15], off
	v_mov_b32_e32 v12, s0
	v_mov_b32_e32 v13, s1
	buffer_wbl2 sc0 sc1
	s_waitcnt vmcnt(0)
	global_atomic_cmpswap_x2 v[4:5], v3, v[12:15], s[18:19] offset:24 sc0 sc1
	s_waitcnt vmcnt(0)
	v_cmp_eq_u64_e32 vcc, v[4:5], v[14:15]
	s_or_b64 s[6:7], vcc, s[6:7]
	v_mov_b64_e32 v[14:15], v[4:5]
	s_andn2_b64 exec, exec, s[6:7]
	s_cbranch_execnz .LBB1_221
	s_branch .LBB1_2
.LBB1_222:
	s_endpgm
	.section	.rodata,"a",@progbits
	.p2align	6, 0x0
	.amdhsa_kernel _Z10vec_verifyIiEvPT_S0_i
		.amdhsa_group_segment_fixed_size 0
		.amdhsa_private_segment_fixed_size 0
		.amdhsa_kernarg_size 272
		.amdhsa_user_sgpr_count 2
		.amdhsa_user_sgpr_dispatch_ptr 0
		.amdhsa_user_sgpr_queue_ptr 0
		.amdhsa_user_sgpr_kernarg_segment_ptr 1
		.amdhsa_user_sgpr_dispatch_id 0
		.amdhsa_user_sgpr_kernarg_preload_length 0
		.amdhsa_user_sgpr_kernarg_preload_offset 0
		.amdhsa_user_sgpr_private_segment_size 0
		.amdhsa_uses_dynamic_stack 0
		.amdhsa_enable_private_segment 0
		.amdhsa_system_sgpr_workgroup_id_x 1
		.amdhsa_system_sgpr_workgroup_id_y 0
		.amdhsa_system_sgpr_workgroup_id_z 0
		.amdhsa_system_sgpr_workgroup_info 0
		.amdhsa_system_vgpr_workitem_id 0
		.amdhsa_next_free_vgpr 45
		.amdhsa_next_free_sgpr 36
		.amdhsa_accum_offset 48
		.amdhsa_reserve_vcc 1
		.amdhsa_float_round_mode_32 0
		.amdhsa_float_round_mode_16_64 0
		.amdhsa_float_denorm_mode_32 3
		.amdhsa_float_denorm_mode_16_64 3
		.amdhsa_dx10_clamp 1
		.amdhsa_ieee_mode 1
		.amdhsa_fp16_overflow 0
		.amdhsa_tg_split 0
		.amdhsa_exception_fp_ieee_invalid_op 0
		.amdhsa_exception_fp_denorm_src 0
		.amdhsa_exception_fp_ieee_div_zero 0
		.amdhsa_exception_fp_ieee_overflow 0
		.amdhsa_exception_fp_ieee_underflow 0
		.amdhsa_exception_fp_ieee_inexact 0
		.amdhsa_exception_int_div_zero 0
	.end_amdhsa_kernel
	.section	.text._Z10vec_verifyIiEvPT_S0_i,"axG",@progbits,_Z10vec_verifyIiEvPT_S0_i,comdat
.Lfunc_end1:
	.size	_Z10vec_verifyIiEvPT_S0_i, .Lfunc_end1-_Z10vec_verifyIiEvPT_S0_i
                                        ; -- End function
	.set _Z10vec_verifyIiEvPT_S0_i.num_vgpr, 45
	.set _Z10vec_verifyIiEvPT_S0_i.num_agpr, 0
	.set _Z10vec_verifyIiEvPT_S0_i.numbered_sgpr, 36
	.set _Z10vec_verifyIiEvPT_S0_i.num_named_barrier, 0
	.set _Z10vec_verifyIiEvPT_S0_i.private_seg_size, 0
	.set _Z10vec_verifyIiEvPT_S0_i.uses_vcc, 1
	.set _Z10vec_verifyIiEvPT_S0_i.uses_flat_scratch, 0
	.set _Z10vec_verifyIiEvPT_S0_i.has_dyn_sized_stack, 0
	.set _Z10vec_verifyIiEvPT_S0_i.has_recursion, 0
	.set _Z10vec_verifyIiEvPT_S0_i.has_indirect_call, 0
	.section	.AMDGPU.csdata,"",@progbits
; Kernel info:
; codeLenInByte = 8128
; TotalNumSgprs: 42
; NumVgprs: 45
; NumAgprs: 0
; TotalNumVgprs: 45
; ScratchSize: 0
; MemoryBound: 0
; FloatMode: 240
; IeeeMode: 1
; LDSByteSize: 0 bytes/workgroup (compile time only)
; SGPRBlocks: 5
; VGPRBlocks: 5
; NumSGPRsForWavesPerEU: 42
; NumVGPRsForWavesPerEU: 45
; AccumOffset: 48
; Occupancy: 8
; WaveLimiterHint : 1
; COMPUTE_PGM_RSRC2:SCRATCH_EN: 0
; COMPUTE_PGM_RSRC2:USER_SGPR: 2
; COMPUTE_PGM_RSRC2:TRAP_HANDLER: 0
; COMPUTE_PGM_RSRC2:TGID_X_EN: 1
; COMPUTE_PGM_RSRC2:TGID_Y_EN: 0
; COMPUTE_PGM_RSRC2:TGID_Z_EN: 0
; COMPUTE_PGM_RSRC2:TIDIG_COMP_CNT: 0
; COMPUTE_PGM_RSRC3_GFX90A:ACCUM_OFFSET: 11
; COMPUTE_PGM_RSRC3_GFX90A:TG_SPLIT: 0
	.section	.text._Z8vec_fillIdEvPT_S0_i,"axG",@progbits,_Z8vec_fillIdEvPT_S0_i,comdat
	.protected	_Z8vec_fillIdEvPT_S0_i  ; -- Begin function _Z8vec_fillIdEvPT_S0_i
	.globl	_Z8vec_fillIdEvPT_S0_i
	.p2align	8
	.type	_Z8vec_fillIdEvPT_S0_i,@function
_Z8vec_fillIdEvPT_S0_i:                 ; @_Z8vec_fillIdEvPT_S0_i
; %bb.0:
	s_load_dword s3, s[0:1], 0x24
	s_load_dword s10, s[0:1], 0x10
	s_add_u32 s8, s0, 24
	s_addc_u32 s9, s1, 0
	s_waitcnt lgkmcnt(0)
	s_and_b32 s3, s3, 0xffff
	s_mul_i32 s2, s2, s3
	v_add_u32_e32 v0, s2, v0
	v_cmp_gt_i32_e32 vcc, s10, v0
	s_and_saveexec_b64 s[4:5], vcc
	s_cbranch_execz .LBB2_3
; %bb.1:
	s_load_dwordx4 s[4:7], s[0:1], 0x0
	s_load_dword s2, s[8:9], 0x0
	v_ashrrev_i32_e32 v1, 31, v0
	s_waitcnt lgkmcnt(0)
	v_mov_b32_e32 v2, s4
	s_mul_i32 s0, s2, s3
	v_mov_b32_e32 v3, s5
	s_ashr_i32 s1, s0, 31
	v_lshl_add_u64 v[2:3], v[0:1], 3, v[2:3]
	s_lshl_b64 s[2:3], s[0:1], 3
	s_mov_b64 s[4:5], 0
.LBB2_2:                                ; =>This Inner Loop Header: Depth=1
	v_cvt_f64_i32_e32 v[4:5], v0
	v_add_u32_e32 v0, s0, v0
	v_mul_f64 v[4:5], s[6:7], v[4:5]
	v_cmp_le_i32_e32 vcc, s10, v0
	global_store_dwordx2 v[2:3], v[4:5], off
	s_or_b64 s[4:5], vcc, s[4:5]
	v_lshl_add_u64 v[2:3], v[2:3], 0, s[2:3]
	s_andn2_b64 exec, exec, s[4:5]
	s_cbranch_execnz .LBB2_2
.LBB2_3:
	s_endpgm
	.section	.rodata,"a",@progbits
	.p2align	6, 0x0
	.amdhsa_kernel _Z8vec_fillIdEvPT_S0_i
		.amdhsa_group_segment_fixed_size 0
		.amdhsa_private_segment_fixed_size 0
		.amdhsa_kernarg_size 280
		.amdhsa_user_sgpr_count 2
		.amdhsa_user_sgpr_dispatch_ptr 0
		.amdhsa_user_sgpr_queue_ptr 0
		.amdhsa_user_sgpr_kernarg_segment_ptr 1
		.amdhsa_user_sgpr_dispatch_id 0
		.amdhsa_user_sgpr_kernarg_preload_length 0
		.amdhsa_user_sgpr_kernarg_preload_offset 0
		.amdhsa_user_sgpr_private_segment_size 0
		.amdhsa_uses_dynamic_stack 0
		.amdhsa_enable_private_segment 0
		.amdhsa_system_sgpr_workgroup_id_x 1
		.amdhsa_system_sgpr_workgroup_id_y 0
		.amdhsa_system_sgpr_workgroup_id_z 0
		.amdhsa_system_sgpr_workgroup_info 0
		.amdhsa_system_vgpr_workitem_id 0
		.amdhsa_next_free_vgpr 6
		.amdhsa_next_free_sgpr 11
		.amdhsa_accum_offset 8
		.amdhsa_reserve_vcc 1
		.amdhsa_float_round_mode_32 0
		.amdhsa_float_round_mode_16_64 0
		.amdhsa_float_denorm_mode_32 3
		.amdhsa_float_denorm_mode_16_64 3
		.amdhsa_dx10_clamp 1
		.amdhsa_ieee_mode 1
		.amdhsa_fp16_overflow 0
		.amdhsa_tg_split 0
		.amdhsa_exception_fp_ieee_invalid_op 0
		.amdhsa_exception_fp_denorm_src 0
		.amdhsa_exception_fp_ieee_div_zero 0
		.amdhsa_exception_fp_ieee_overflow 0
		.amdhsa_exception_fp_ieee_underflow 0
		.amdhsa_exception_fp_ieee_inexact 0
		.amdhsa_exception_int_div_zero 0
	.end_amdhsa_kernel
	.section	.text._Z8vec_fillIdEvPT_S0_i,"axG",@progbits,_Z8vec_fillIdEvPT_S0_i,comdat
.Lfunc_end2:
	.size	_Z8vec_fillIdEvPT_S0_i, .Lfunc_end2-_Z8vec_fillIdEvPT_S0_i
                                        ; -- End function
	.set _Z8vec_fillIdEvPT_S0_i.num_vgpr, 6
	.set _Z8vec_fillIdEvPT_S0_i.num_agpr, 0
	.set _Z8vec_fillIdEvPT_S0_i.numbered_sgpr, 11
	.set _Z8vec_fillIdEvPT_S0_i.num_named_barrier, 0
	.set _Z8vec_fillIdEvPT_S0_i.private_seg_size, 0
	.set _Z8vec_fillIdEvPT_S0_i.uses_vcc, 1
	.set _Z8vec_fillIdEvPT_S0_i.uses_flat_scratch, 0
	.set _Z8vec_fillIdEvPT_S0_i.has_dyn_sized_stack, 0
	.set _Z8vec_fillIdEvPT_S0_i.has_recursion, 0
	.set _Z8vec_fillIdEvPT_S0_i.has_indirect_call, 0
	.section	.AMDGPU.csdata,"",@progbits
; Kernel info:
; codeLenInByte = 164
; TotalNumSgprs: 17
; NumVgprs: 6
; NumAgprs: 0
; TotalNumVgprs: 6
; ScratchSize: 0
; MemoryBound: 0
; FloatMode: 240
; IeeeMode: 1
; LDSByteSize: 0 bytes/workgroup (compile time only)
; SGPRBlocks: 2
; VGPRBlocks: 0
; NumSGPRsForWavesPerEU: 17
; NumVGPRsForWavesPerEU: 6
; AccumOffset: 8
; Occupancy: 8
; WaveLimiterHint : 0
; COMPUTE_PGM_RSRC2:SCRATCH_EN: 0
; COMPUTE_PGM_RSRC2:USER_SGPR: 2
; COMPUTE_PGM_RSRC2:TRAP_HANDLER: 0
; COMPUTE_PGM_RSRC2:TGID_X_EN: 1
; COMPUTE_PGM_RSRC2:TGID_Y_EN: 0
; COMPUTE_PGM_RSRC2:TGID_Z_EN: 0
; COMPUTE_PGM_RSRC2:TIDIG_COMP_CNT: 0
; COMPUTE_PGM_RSRC3_GFX90A:ACCUM_OFFSET: 1
; COMPUTE_PGM_RSRC3_GFX90A:TG_SPLIT: 0
	.section	.text._Z10vec_verifyIdEvPT_S0_i,"axG",@progbits,_Z10vec_verifyIdEvPT_S0_i,comdat
	.protected	_Z10vec_verifyIdEvPT_S0_i ; -- Begin function _Z10vec_verifyIdEvPT_S0_i
	.globl	_Z10vec_verifyIdEvPT_S0_i
	.p2align	8
	.type	_Z10vec_verifyIdEvPT_S0_i,@function
_Z10vec_verifyIdEvPT_S0_i:              ; @_Z10vec_verifyIdEvPT_S0_i
; %bb.0:
	s_load_dword s3, s[0:1], 0x24
	s_load_dword s33, s[0:1], 0x10
	s_add_u32 s12, s0, 24
	s_addc_u32 s13, s1, 0
	s_waitcnt lgkmcnt(0)
	s_and_b32 s8, s3, 0xffff
	s_mul_i32 s2, s2, s8
	v_add_u32_e32 v40, s2, v0
	v_cmp_gt_i32_e32 vcc, s33, v40
	s_and_saveexec_b64 s[2:3], vcc
	s_cbranch_execz .LBB3_222
; %bb.1:
	s_load_dword s34, s[12:13], 0x0
	s_load_dwordx4 s[4:7], s[0:1], 0x0
	s_getpc_b64 s[0:1]
	s_add_u32 s0, s0, .str@rel32@lo+4
	s_addc_u32 s1, s1, .str@rel32@hi+12
	v_mbcnt_lo_u32_b32 v0, -1, 0
	s_cmp_lg_u64 s[0:1], 0
	v_mov_b32_e32 v3, 0
	v_mbcnt_hi_u32_b32 v44, -1, v0
	s_mov_b64 s[2:3], 0
	s_waitcnt lgkmcnt(0)
	s_mul_i32 s34, s34, s8
	s_cselect_b64 s[14:15], -1, 0
	s_mov_b32 s8, 0
	s_movk_i32 s35, 0xff1f
	s_movk_i32 s36, 0xff1d
	v_mov_b32_e32 v6, 2
	v_mov_b32_e32 v7, 1
	v_lshlrev_b32_e32 v42, 6, v44
	v_mov_b32_e32 v8, 33
	v_mov_b32_e32 v9, v3
	;; [unrolled: 1-line block ×4, first 2 shown]
	s_branch .LBB3_3
.LBB3_2:                                ;   in Loop: Header=BB3_3 Depth=1
	s_or_b64 exec, exec, s[16:17]
	v_add_u32_e32 v40, s34, v40
	v_cmp_le_i32_e32 vcc, s33, v40
	s_or_b64 s[2:3], vcc, s[2:3]
	s_andn2_b64 exec, exec, s[2:3]
	s_cbranch_execz .LBB3_222
.LBB3_3:                                ; =>This Loop Header: Depth=1
                                        ;     Child Loop BB3_7 Depth 2
                                        ;     Child Loop BB3_15 Depth 2
	;; [unrolled: 1-line block ×9, first 2 shown]
                                        ;       Child Loop BB3_36 Depth 3
                                        ;       Child Loop BB3_44 Depth 3
	;; [unrolled: 1-line block ×11, first 2 shown]
                                        ;     Child Loop BB3_147 Depth 2
                                        ;     Child Loop BB3_155 Depth 2
	;; [unrolled: 1-line block ×12, first 2 shown]
	v_ashrrev_i32_e32 v41, 31, v40
	v_lshl_add_u64 v[0:1], v[40:41], 3, s[4:5]
	global_load_dwordx2 v[18:19], v[0:1], off
	v_cvt_f64_i32_e32 v[0:1], v40
	v_mul_f64 v[14:15], s[6:7], v[0:1]
	s_waitcnt vmcnt(0)
	v_cmp_neq_f64_e32 vcc, v[18:19], v[14:15]
	s_and_saveexec_b64 s[16:17], vcc
	s_cbranch_execz .LBB3_2
; %bb.4:                                ;   in Loop: Header=BB3_3 Depth=1
	s_load_dwordx2 s[18:19], s[12:13], 0x50
	v_readfirstlane_b32 s0, v44
	v_mov_b64_e32 v[0:1], 0
	s_nop 0
	v_cmp_eq_u32_e64 s[0:1], s0, v44
	s_and_saveexec_b64 s[10:11], s[0:1]
	s_cbranch_execz .LBB3_10
; %bb.5:                                ;   in Loop: Header=BB3_3 Depth=1
	s_waitcnt lgkmcnt(0)
	global_load_dwordx2 v[22:23], v3, s[18:19] offset:24 sc0 sc1
	s_waitcnt vmcnt(0)
	buffer_inv sc0 sc1
	global_load_dwordx2 v[0:1], v3, s[18:19] offset:40
	global_load_dwordx2 v[4:5], v3, s[18:19]
	s_waitcnt vmcnt(1)
	v_and_b32_e32 v0, v0, v22
	v_and_b32_e32 v1, v1, v23
	v_mul_lo_u32 v1, v1, 24
	v_mul_hi_u32 v2, v0, 24
	v_add_u32_e32 v1, v2, v1
	v_mul_lo_u32 v0, v0, 24
	s_waitcnt vmcnt(0)
	v_lshl_add_u64 v[0:1], v[4:5], 0, v[0:1]
	global_load_dwordx2 v[20:21], v[0:1], off sc0 sc1
	s_waitcnt vmcnt(0)
	global_atomic_cmpswap_x2 v[0:1], v3, v[20:23], s[18:19] offset:24 sc0 sc1
	s_waitcnt vmcnt(0)
	buffer_inv sc0 sc1
	v_cmp_ne_u64_e32 vcc, v[0:1], v[22:23]
	s_and_saveexec_b64 s[20:21], vcc
	s_cbranch_execz .LBB3_9
; %bb.6:                                ;   in Loop: Header=BB3_3 Depth=1
	s_mov_b64 s[22:23], 0
.LBB3_7:                                ;   Parent Loop BB3_3 Depth=1
                                        ; =>  This Inner Loop Header: Depth=2
	s_sleep 1
	global_load_dwordx2 v[4:5], v3, s[18:19] offset:40
	global_load_dwordx2 v[12:13], v3, s[18:19]
	v_mov_b64_e32 v[22:23], v[0:1]
	s_waitcnt vmcnt(1)
	v_and_b32_e32 v0, v4, v22
	s_waitcnt vmcnt(0)
	v_mad_u64_u32 v[0:1], s[24:25], v0, 24, v[12:13]
	v_and_b32_e32 v5, v5, v23
	v_mov_b32_e32 v2, v1
	v_mad_u64_u32 v[4:5], s[24:25], v5, 24, v[2:3]
	v_mov_b32_e32 v1, v4
	global_load_dwordx2 v[20:21], v[0:1], off sc0 sc1
	s_waitcnt vmcnt(0)
	global_atomic_cmpswap_x2 v[0:1], v3, v[20:23], s[18:19] offset:24 sc0 sc1
	s_waitcnt vmcnt(0)
	buffer_inv sc0 sc1
	v_cmp_eq_u64_e32 vcc, v[0:1], v[22:23]
	s_or_b64 s[22:23], vcc, s[22:23]
	s_andn2_b64 exec, exec, s[22:23]
	s_cbranch_execnz .LBB3_7
; %bb.8:                                ;   in Loop: Header=BB3_3 Depth=1
	s_or_b64 exec, exec, s[22:23]
.LBB3_9:                                ;   in Loop: Header=BB3_3 Depth=1
	s_or_b64 exec, exec, s[20:21]
.LBB3_10:                               ;   in Loop: Header=BB3_3 Depth=1
	s_or_b64 exec, exec, s[10:11]
	s_waitcnt lgkmcnt(0)
	global_load_dwordx2 v[4:5], v3, s[18:19] offset:40
	global_load_dwordx4 v[20:23], v3, s[18:19]
	v_readfirstlane_b32 s21, v1
	v_readfirstlane_b32 s20, v0
	s_mov_b64 s[10:11], exec
	s_waitcnt vmcnt(1)
	v_readfirstlane_b32 s22, v4
	v_readfirstlane_b32 s23, v5
	s_and_b64 s[22:23], s[22:23], s[20:21]
	s_mul_i32 s9, s23, 24
	s_mul_hi_u32 s24, s22, 24
	s_add_i32 s25, s24, s9
	s_mul_i32 s24, s22, 24
	s_waitcnt vmcnt(0)
	v_lshl_add_u64 v[0:1], v[20:21], 0, s[24:25]
	s_and_saveexec_b64 s[24:25], s[0:1]
	s_cbranch_execz .LBB3_12
; %bb.11:                               ;   in Loop: Header=BB3_3 Depth=1
	v_mov_b64_e32 v[4:5], s[10:11]
	global_store_dwordx4 v[0:1], v[4:7], off offset:8
.LBB3_12:                               ;   in Loop: Header=BB3_3 Depth=1
	s_or_b64 exec, exec, s[24:25]
	s_lshl_b64 s[10:11], s[22:23], 12
	v_lshl_add_u64 v[4:5], v[22:23], 0, s[10:11]
	s_mov_b32 s10, s8
	s_mov_b32 s11, s8
	;; [unrolled: 1-line block ×3, first 2 shown]
	v_mov_b64_e32 v[24:25], s[10:11]
	v_readfirstlane_b32 s22, v4
	v_readfirstlane_b32 s23, v5
	v_mov_b64_e32 v[22:23], s[8:9]
	s_nop 3
	global_store_dwordx4 v42, v[8:11], s[22:23]
	global_store_dwordx4 v42, v[22:25], s[22:23] offset:16
	global_store_dwordx4 v42, v[22:25], s[22:23] offset:32
	;; [unrolled: 1-line block ×3, first 2 shown]
	s_and_saveexec_b64 s[10:11], s[0:1]
	s_cbranch_execz .LBB3_20
; %bb.13:                               ;   in Loop: Header=BB3_3 Depth=1
	global_load_dwordx2 v[24:25], v3, s[18:19] offset:32 sc0 sc1
	global_load_dwordx2 v[12:13], v3, s[18:19] offset:40
	v_mov_b32_e32 v22, s20
	v_mov_b32_e32 v23, s21
	s_waitcnt vmcnt(0)
	v_and_b32_e32 v2, s20, v12
	v_and_b32_e32 v12, s21, v13
	v_mul_lo_u32 v13, v12, 24
	v_mul_hi_u32 v16, v2, 24
	v_mul_lo_u32 v12, v2, 24
	v_add_u32_e32 v13, v16, v13
	v_lshl_add_u64 v[12:13], v[20:21], 0, v[12:13]
	global_store_dwordx2 v[12:13], v[24:25], off
	buffer_wbl2 sc0 sc1
	s_waitcnt vmcnt(0)
	global_atomic_cmpswap_x2 v[22:23], v3, v[22:25], s[18:19] offset:32 sc0 sc1
	s_waitcnt vmcnt(0)
	v_cmp_ne_u64_e32 vcc, v[22:23], v[24:25]
	s_and_saveexec_b64 s[22:23], vcc
	s_cbranch_execz .LBB3_16
; %bb.14:                               ;   in Loop: Header=BB3_3 Depth=1
	s_mov_b64 s[24:25], 0
.LBB3_15:                               ;   Parent Loop BB3_3 Depth=1
                                        ; =>  This Inner Loop Header: Depth=2
	s_sleep 1
	global_store_dwordx2 v[12:13], v[22:23], off
	v_mov_b32_e32 v20, s20
	v_mov_b32_e32 v21, s21
	buffer_wbl2 sc0 sc1
	s_waitcnt vmcnt(0)
	global_atomic_cmpswap_x2 v[16:17], v3, v[20:23], s[18:19] offset:32 sc0 sc1
	s_waitcnt vmcnt(0)
	v_cmp_eq_u64_e32 vcc, v[16:17], v[22:23]
	s_or_b64 s[24:25], vcc, s[24:25]
	v_mov_b64_e32 v[22:23], v[16:17]
	s_andn2_b64 exec, exec, s[24:25]
	s_cbranch_execnz .LBB3_15
.LBB3_16:                               ;   in Loop: Header=BB3_3 Depth=1
	s_or_b64 exec, exec, s[22:23]
	global_load_dwordx2 v[12:13], v3, s[18:19] offset:16
	s_mov_b64 s[24:25], exec
	v_mbcnt_lo_u32_b32 v2, s24, 0
	v_mbcnt_hi_u32_b32 v2, s25, v2
	v_cmp_eq_u32_e32 vcc, 0, v2
	s_and_saveexec_b64 s[22:23], vcc
	s_cbranch_execz .LBB3_18
; %bb.17:                               ;   in Loop: Header=BB3_3 Depth=1
	s_bcnt1_i32_b64 s9, s[24:25]
	v_mov_b32_e32 v2, s9
	buffer_wbl2 sc0 sc1
	s_waitcnt vmcnt(0)
	global_atomic_add_x2 v[12:13], v[2:3], off offset:8 sc1
.LBB3_18:                               ;   in Loop: Header=BB3_3 Depth=1
	s_or_b64 exec, exec, s[22:23]
	s_waitcnt vmcnt(0)
	global_load_dwordx2 v[16:17], v[12:13], off offset:16
	s_waitcnt vmcnt(0)
	v_cmp_eq_u64_e32 vcc, 0, v[16:17]
	s_cbranch_vccnz .LBB3_20
; %bb.19:                               ;   in Loop: Header=BB3_3 Depth=1
	global_load_dword v2, v[12:13], off offset:24
	s_waitcnt vmcnt(0)
	v_readfirstlane_b32 s9, v2
	s_and_b32 m0, s9, 0xffffff
	buffer_wbl2 sc0 sc1
	global_store_dwordx2 v[16:17], v[2:3], off sc0 sc1
	s_sendmsg sendmsg(MSG_INTERRUPT)
.LBB3_20:                               ;   in Loop: Header=BB3_3 Depth=1
	s_or_b64 exec, exec, s[10:11]
	v_mov_b32_e32 v43, v3
	v_lshl_add_u64 v[4:5], v[4:5], 0, v[42:43]
	s_branch .LBB3_24
.LBB3_21:                               ;   in Loop: Header=BB3_24 Depth=2
	s_or_b64 exec, exec, s[10:11]
	v_readfirstlane_b32 s9, v2
	s_cmp_eq_u32 s9, 0
	s_cbranch_scc1 .LBB3_23
; %bb.22:                               ;   in Loop: Header=BB3_24 Depth=2
	s_sleep 1
	s_cbranch_execnz .LBB3_24
	s_branch .LBB3_26
.LBB3_23:                               ;   in Loop: Header=BB3_3 Depth=1
	s_branch .LBB3_26
.LBB3_24:                               ;   Parent Loop BB3_3 Depth=1
                                        ; =>  This Inner Loop Header: Depth=2
	v_mov_b32_e32 v2, 1
	s_and_saveexec_b64 s[10:11], s[0:1]
	s_cbranch_execz .LBB3_21
; %bb.25:                               ;   in Loop: Header=BB3_24 Depth=2
	global_load_dword v2, v[0:1], off offset:20 sc0 sc1
	s_waitcnt vmcnt(0)
	buffer_inv sc0 sc1
	v_and_b32_e32 v2, 1, v2
	s_branch .LBB3_21
.LBB3_26:                               ;   in Loop: Header=BB3_3 Depth=1
	global_load_dwordx2 v[0:1], v[4:5], off
	s_and_saveexec_b64 s[10:11], s[0:1]
	s_cbranch_execz .LBB3_30
; %bb.27:                               ;   in Loop: Header=BB3_3 Depth=1
	global_load_dwordx2 v[4:5], v3, s[18:19] offset:40
	global_load_dwordx2 v[24:25], v3, s[18:19] offset:24 sc0 sc1
	global_load_dwordx2 v[12:13], v3, s[18:19]
	s_waitcnt vmcnt(2)
	v_readfirstlane_b32 s22, v4
	v_readfirstlane_b32 s23, v5
	s_add_u32 s9, s22, 1
	s_addc_u32 s24, s23, 0
	s_add_u32 s0, s9, s20
	s_addc_u32 s1, s24, s21
	s_cmp_eq_u64 s[0:1], 0
	s_cselect_b32 s1, s24, s1
	s_cselect_b32 s0, s9, s0
	s_and_b64 s[20:21], s[0:1], s[22:23]
	s_mul_i32 s9, s21, 24
	s_mul_hi_u32 s21, s20, 24
	s_mul_i32 s20, s20, 24
	s_add_i32 s21, s21, s9
	s_waitcnt vmcnt(0)
	v_lshl_add_u64 v[4:5], v[12:13], 0, s[20:21]
	v_mov_b32_e32 v22, s0
	global_store_dwordx2 v[4:5], v[24:25], off
	v_mov_b32_e32 v23, s1
	buffer_wbl2 sc0 sc1
	s_waitcnt vmcnt(0)
	global_atomic_cmpswap_x2 v[22:23], v3, v[22:25], s[18:19] offset:24 sc0 sc1
	s_waitcnt vmcnt(0)
	v_cmp_ne_u64_e32 vcc, v[22:23], v[24:25]
	s_and_b64 exec, exec, vcc
	s_cbranch_execz .LBB3_30
; %bb.28:                               ;   in Loop: Header=BB3_3 Depth=1
	s_mov_b64 s[20:21], 0
.LBB3_29:                               ;   Parent Loop BB3_3 Depth=1
                                        ; =>  This Inner Loop Header: Depth=2
	s_sleep 1
	global_store_dwordx2 v[4:5], v[22:23], off
	v_mov_b32_e32 v20, s0
	v_mov_b32_e32 v21, s1
	buffer_wbl2 sc0 sc1
	s_waitcnt vmcnt(0)
	global_atomic_cmpswap_x2 v[12:13], v3, v[20:23], s[18:19] offset:24 sc0 sc1
	s_waitcnt vmcnt(0)
	v_cmp_eq_u64_e32 vcc, v[12:13], v[22:23]
	s_or_b64 s[20:21], vcc, s[20:21]
	v_mov_b64_e32 v[22:23], v[12:13]
	s_andn2_b64 exec, exec, s[20:21]
	s_cbranch_execnz .LBB3_29
.LBB3_30:                               ;   in Loop: Header=BB3_3 Depth=1
	s_or_b64 exec, exec, s[10:11]
	s_and_b64 vcc, exec, s[14:15]
	s_cbranch_vccz .LBB3_116
; %bb.31:                               ;   in Loop: Header=BB3_3 Depth=1
	s_waitcnt vmcnt(0)
	v_and_b32_e32 v12, 2, v0
	v_and_b32_e32 v20, -3, v0
	v_mov_b32_e32 v21, v1
	s_mov_b64 s[20:21], 35
	s_getpc_b64 s[10:11]
	s_add_u32 s10, s10, .str@rel32@lo+4
	s_addc_u32 s11, s11, .str@rel32@hi+12
	s_branch .LBB3_33
.LBB3_32:                               ;   in Loop: Header=BB3_33 Depth=2
	s_or_b64 exec, exec, s[26:27]
	s_sub_u32 s20, s20, s22
	s_subb_u32 s21, s21, s23
	s_add_u32 s10, s10, s22
	s_addc_u32 s11, s11, s23
	s_cmp_lg_u64 s[20:21], 0
	s_cbranch_scc0 .LBB3_115
.LBB3_33:                               ;   Parent Loop BB3_3 Depth=1
                                        ; =>  This Loop Header: Depth=2
                                        ;       Child Loop BB3_36 Depth 3
                                        ;       Child Loop BB3_44 Depth 3
	;; [unrolled: 1-line block ×11, first 2 shown]
	v_cmp_lt_u64_e64 s[0:1], s[20:21], 56
	s_and_b64 s[0:1], s[0:1], exec
	s_cselect_b32 s23, s21, 0
	s_cselect_b32 s22, s20, 56
	v_cmp_gt_u64_e64 s[24:25], s[20:21], 7
	s_add_u32 s0, s10, 8
	s_addc_u32 s1, s11, 0
	s_and_b64 vcc, exec, s[24:25]
	s_cbranch_vccnz .LBB3_37
; %bb.34:                               ;   in Loop: Header=BB3_33 Depth=2
	s_cmp_eq_u64 s[20:21], 0
	s_cbranch_scc1 .LBB3_38
; %bb.35:                               ;   in Loop: Header=BB3_33 Depth=2
	s_lshl_b64 s[0:1], s[22:23], 3
	s_mov_b64 s[24:25], 0
	v_mov_b64_e32 v[22:23], 0
	s_mov_b64 s[26:27], s[10:11]
.LBB3_36:                               ;   Parent Loop BB3_3 Depth=1
                                        ;     Parent Loop BB3_33 Depth=2
                                        ; =>    This Inner Loop Header: Depth=3
	global_load_ubyte v2, v3, s[26:27]
	s_waitcnt vmcnt(0)
	v_and_b32_e32 v2, 0xffff, v2
	v_lshlrev_b64 v[4:5], s24, v[2:3]
	s_add_u32 s24, s24, 8
	s_addc_u32 s25, s25, 0
	s_add_u32 s26, s26, 1
	s_addc_u32 s27, s27, 0
	v_or_b32_e32 v22, v4, v22
	s_cmp_lg_u32 s0, s24
	v_or_b32_e32 v23, v5, v23
	s_cbranch_scc1 .LBB3_36
	s_branch .LBB3_39
.LBB3_37:                               ;   in Loop: Header=BB3_33 Depth=2
	s_mov_b32 s9, 0
	s_branch .LBB3_40
.LBB3_38:                               ;   in Loop: Header=BB3_33 Depth=2
	v_mov_b64_e32 v[22:23], 0
.LBB3_39:                               ;   in Loop: Header=BB3_33 Depth=2
	s_mov_b64 s[0:1], s[10:11]
	s_mov_b32 s9, 0
	s_cbranch_execnz .LBB3_41
.LBB3_40:                               ;   in Loop: Header=BB3_33 Depth=2
	global_load_dwordx2 v[22:23], v3, s[10:11]
	s_add_i32 s9, s22, -8
.LBB3_41:                               ;   in Loop: Header=BB3_33 Depth=2
	s_add_u32 s24, s0, 8
	s_addc_u32 s25, s1, 0
	s_cmp_gt_u32 s9, 7
	s_cbranch_scc1 .LBB3_45
; %bb.42:                               ;   in Loop: Header=BB3_33 Depth=2
	s_cmp_eq_u32 s9, 0
	s_cbranch_scc1 .LBB3_46
; %bb.43:                               ;   in Loop: Header=BB3_33 Depth=2
	s_mov_b64 s[24:25], 0
	v_mov_b64_e32 v[24:25], 0
	s_mov_b64 s[26:27], 0
.LBB3_44:                               ;   Parent Loop BB3_3 Depth=1
                                        ;     Parent Loop BB3_33 Depth=2
                                        ; =>    This Inner Loop Header: Depth=3
	s_add_u32 s28, s0, s26
	s_addc_u32 s29, s1, s27
	global_load_ubyte v2, v3, s[28:29]
	s_add_u32 s26, s26, 1
	s_addc_u32 s27, s27, 0
	s_waitcnt vmcnt(0)
	v_and_b32_e32 v2, 0xffff, v2
	v_lshlrev_b64 v[4:5], s24, v[2:3]
	s_add_u32 s24, s24, 8
	s_addc_u32 s25, s25, 0
	v_or_b32_e32 v24, v4, v24
	s_cmp_lg_u32 s9, s26
	v_or_b32_e32 v25, v5, v25
	s_cbranch_scc1 .LBB3_44
	s_branch .LBB3_47
.LBB3_45:                               ;   in Loop: Header=BB3_33 Depth=2
                                        ; implicit-def: $vgpr24_vgpr25
	s_mov_b32 s28, 0
	s_branch .LBB3_48
.LBB3_46:                               ;   in Loop: Header=BB3_33 Depth=2
	v_mov_b64_e32 v[24:25], 0
.LBB3_47:                               ;   in Loop: Header=BB3_33 Depth=2
	s_mov_b64 s[24:25], s[0:1]
	s_mov_b32 s28, 0
	s_cbranch_execnz .LBB3_49
.LBB3_48:                               ;   in Loop: Header=BB3_33 Depth=2
	global_load_dwordx2 v[24:25], v3, s[0:1]
	s_add_i32 s28, s9, -8
.LBB3_49:                               ;   in Loop: Header=BB3_33 Depth=2
	s_add_u32 s0, s24, 8
	s_addc_u32 s1, s25, 0
	s_cmp_gt_u32 s28, 7
	s_cbranch_scc1 .LBB3_53
; %bb.50:                               ;   in Loop: Header=BB3_33 Depth=2
	s_cmp_eq_u32 s28, 0
	s_cbranch_scc1 .LBB3_54
; %bb.51:                               ;   in Loop: Header=BB3_33 Depth=2
	s_mov_b64 s[0:1], 0
	v_mov_b64_e32 v[26:27], 0
	s_mov_b64 s[26:27], 0
.LBB3_52:                               ;   Parent Loop BB3_3 Depth=1
                                        ;     Parent Loop BB3_33 Depth=2
                                        ; =>    This Inner Loop Header: Depth=3
	s_add_u32 s30, s24, s26
	s_addc_u32 s31, s25, s27
	global_load_ubyte v2, v3, s[30:31]
	s_add_u32 s26, s26, 1
	s_addc_u32 s27, s27, 0
	s_waitcnt vmcnt(0)
	v_and_b32_e32 v2, 0xffff, v2
	v_lshlrev_b64 v[4:5], s0, v[2:3]
	s_add_u32 s0, s0, 8
	s_addc_u32 s1, s1, 0
	v_or_b32_e32 v26, v4, v26
	s_cmp_lg_u32 s28, s26
	v_or_b32_e32 v27, v5, v27
	s_cbranch_scc1 .LBB3_52
	s_branch .LBB3_55
.LBB3_53:                               ;   in Loop: Header=BB3_33 Depth=2
	s_mov_b32 s9, 0
	s_branch .LBB3_56
.LBB3_54:                               ;   in Loop: Header=BB3_33 Depth=2
	v_mov_b64_e32 v[26:27], 0
.LBB3_55:                               ;   in Loop: Header=BB3_33 Depth=2
	s_mov_b64 s[0:1], s[24:25]
	s_mov_b32 s9, 0
	s_cbranch_execnz .LBB3_57
.LBB3_56:                               ;   in Loop: Header=BB3_33 Depth=2
	global_load_dwordx2 v[26:27], v3, s[24:25]
	s_add_i32 s9, s28, -8
.LBB3_57:                               ;   in Loop: Header=BB3_33 Depth=2
	s_add_u32 s24, s0, 8
	s_addc_u32 s25, s1, 0
	s_cmp_gt_u32 s9, 7
	s_cbranch_scc1 .LBB3_61
; %bb.58:                               ;   in Loop: Header=BB3_33 Depth=2
	s_cmp_eq_u32 s9, 0
	s_cbranch_scc1 .LBB3_62
; %bb.59:                               ;   in Loop: Header=BB3_33 Depth=2
	s_mov_b64 s[24:25], 0
	v_mov_b64_e32 v[28:29], 0
	s_mov_b64 s[26:27], 0
.LBB3_60:                               ;   Parent Loop BB3_3 Depth=1
                                        ;     Parent Loop BB3_33 Depth=2
                                        ; =>    This Inner Loop Header: Depth=3
	s_add_u32 s28, s0, s26
	s_addc_u32 s29, s1, s27
	global_load_ubyte v2, v3, s[28:29]
	s_add_u32 s26, s26, 1
	s_addc_u32 s27, s27, 0
	s_waitcnt vmcnt(0)
	v_and_b32_e32 v2, 0xffff, v2
	v_lshlrev_b64 v[4:5], s24, v[2:3]
	s_add_u32 s24, s24, 8
	s_addc_u32 s25, s25, 0
	v_or_b32_e32 v28, v4, v28
	s_cmp_lg_u32 s9, s26
	v_or_b32_e32 v29, v5, v29
	s_cbranch_scc1 .LBB3_60
	s_branch .LBB3_63
.LBB3_61:                               ;   in Loop: Header=BB3_33 Depth=2
                                        ; implicit-def: $vgpr28_vgpr29
	s_mov_b32 s28, 0
	s_branch .LBB3_64
.LBB3_62:                               ;   in Loop: Header=BB3_33 Depth=2
	v_mov_b64_e32 v[28:29], 0
.LBB3_63:                               ;   in Loop: Header=BB3_33 Depth=2
	s_mov_b64 s[24:25], s[0:1]
	s_mov_b32 s28, 0
	s_cbranch_execnz .LBB3_65
.LBB3_64:                               ;   in Loop: Header=BB3_33 Depth=2
	global_load_dwordx2 v[28:29], v3, s[0:1]
	s_add_i32 s28, s9, -8
.LBB3_65:                               ;   in Loop: Header=BB3_33 Depth=2
	s_add_u32 s0, s24, 8
	s_addc_u32 s1, s25, 0
	s_cmp_gt_u32 s28, 7
	s_cbranch_scc1 .LBB3_69
; %bb.66:                               ;   in Loop: Header=BB3_33 Depth=2
	s_cmp_eq_u32 s28, 0
	s_cbranch_scc1 .LBB3_70
; %bb.67:                               ;   in Loop: Header=BB3_33 Depth=2
	s_mov_b64 s[0:1], 0
	v_mov_b64_e32 v[30:31], 0
	s_mov_b64 s[26:27], 0
.LBB3_68:                               ;   Parent Loop BB3_3 Depth=1
                                        ;     Parent Loop BB3_33 Depth=2
                                        ; =>    This Inner Loop Header: Depth=3
	s_add_u32 s30, s24, s26
	s_addc_u32 s31, s25, s27
	global_load_ubyte v2, v3, s[30:31]
	s_add_u32 s26, s26, 1
	s_addc_u32 s27, s27, 0
	s_waitcnt vmcnt(0)
	v_and_b32_e32 v2, 0xffff, v2
	v_lshlrev_b64 v[4:5], s0, v[2:3]
	s_add_u32 s0, s0, 8
	s_addc_u32 s1, s1, 0
	v_or_b32_e32 v30, v4, v30
	s_cmp_lg_u32 s28, s26
	v_or_b32_e32 v31, v5, v31
	s_cbranch_scc1 .LBB3_68
	s_branch .LBB3_71
.LBB3_69:                               ;   in Loop: Header=BB3_33 Depth=2
	s_mov_b32 s9, 0
	s_branch .LBB3_72
.LBB3_70:                               ;   in Loop: Header=BB3_33 Depth=2
	v_mov_b64_e32 v[30:31], 0
.LBB3_71:                               ;   in Loop: Header=BB3_33 Depth=2
	s_mov_b64 s[0:1], s[24:25]
	s_mov_b32 s9, 0
	s_cbranch_execnz .LBB3_73
.LBB3_72:                               ;   in Loop: Header=BB3_33 Depth=2
	global_load_dwordx2 v[30:31], v3, s[24:25]
	s_add_i32 s9, s28, -8
.LBB3_73:                               ;   in Loop: Header=BB3_33 Depth=2
	s_add_u32 s24, s0, 8
	s_addc_u32 s25, s1, 0
	s_cmp_gt_u32 s9, 7
	s_cbranch_scc1 .LBB3_77
; %bb.74:                               ;   in Loop: Header=BB3_33 Depth=2
	s_cmp_eq_u32 s9, 0
	s_cbranch_scc1 .LBB3_78
; %bb.75:                               ;   in Loop: Header=BB3_33 Depth=2
	s_mov_b64 s[24:25], 0
	v_mov_b64_e32 v[32:33], 0
	s_mov_b64 s[26:27], 0
.LBB3_76:                               ;   Parent Loop BB3_3 Depth=1
                                        ;     Parent Loop BB3_33 Depth=2
                                        ; =>    This Inner Loop Header: Depth=3
	s_add_u32 s28, s0, s26
	s_addc_u32 s29, s1, s27
	global_load_ubyte v2, v3, s[28:29]
	s_add_u32 s26, s26, 1
	s_addc_u32 s27, s27, 0
	s_waitcnt vmcnt(0)
	v_and_b32_e32 v2, 0xffff, v2
	v_lshlrev_b64 v[4:5], s24, v[2:3]
	s_add_u32 s24, s24, 8
	s_addc_u32 s25, s25, 0
	v_or_b32_e32 v32, v4, v32
	s_cmp_lg_u32 s9, s26
	v_or_b32_e32 v33, v5, v33
	s_cbranch_scc1 .LBB3_76
	s_branch .LBB3_79
.LBB3_77:                               ;   in Loop: Header=BB3_33 Depth=2
                                        ; implicit-def: $vgpr32_vgpr33
	s_mov_b32 s28, 0
	s_branch .LBB3_80
.LBB3_78:                               ;   in Loop: Header=BB3_33 Depth=2
	v_mov_b64_e32 v[32:33], 0
.LBB3_79:                               ;   in Loop: Header=BB3_33 Depth=2
	s_mov_b64 s[24:25], s[0:1]
	s_mov_b32 s28, 0
	s_cbranch_execnz .LBB3_81
.LBB3_80:                               ;   in Loop: Header=BB3_33 Depth=2
	global_load_dwordx2 v[32:33], v3, s[0:1]
	s_add_i32 s28, s9, -8
.LBB3_81:                               ;   in Loop: Header=BB3_33 Depth=2
	s_cmp_gt_u32 s28, 7
	s_cbranch_scc1 .LBB3_85
; %bb.82:                               ;   in Loop: Header=BB3_33 Depth=2
	s_cmp_eq_u32 s28, 0
	s_cbranch_scc1 .LBB3_86
; %bb.83:                               ;   in Loop: Header=BB3_33 Depth=2
	s_mov_b64 s[0:1], 0
	v_mov_b64_e32 v[34:35], 0
	s_mov_b64 s[26:27], s[24:25]
.LBB3_84:                               ;   Parent Loop BB3_3 Depth=1
                                        ;     Parent Loop BB3_33 Depth=2
                                        ; =>    This Inner Loop Header: Depth=3
	global_load_ubyte v2, v3, s[26:27]
	s_add_i32 s28, s28, -1
	s_waitcnt vmcnt(0)
	v_and_b32_e32 v2, 0xffff, v2
	v_lshlrev_b64 v[4:5], s0, v[2:3]
	s_add_u32 s0, s0, 8
	s_addc_u32 s1, s1, 0
	s_add_u32 s26, s26, 1
	s_addc_u32 s27, s27, 0
	v_or_b32_e32 v34, v4, v34
	s_cmp_lg_u32 s28, 0
	v_or_b32_e32 v35, v5, v35
	s_cbranch_scc1 .LBB3_84
	s_branch .LBB3_87
.LBB3_85:                               ;   in Loop: Header=BB3_33 Depth=2
	s_branch .LBB3_88
.LBB3_86:                               ;   in Loop: Header=BB3_33 Depth=2
	v_mov_b64_e32 v[34:35], 0
.LBB3_87:                               ;   in Loop: Header=BB3_33 Depth=2
	s_cbranch_execnz .LBB3_89
.LBB3_88:                               ;   in Loop: Header=BB3_33 Depth=2
	global_load_dwordx2 v[34:35], v3, s[24:25]
.LBB3_89:                               ;   in Loop: Header=BB3_33 Depth=2
	v_readfirstlane_b32 s0, v44
	v_mov_b64_e32 v[4:5], 0
	s_nop 0
	v_cmp_eq_u32_e64 s[0:1], s0, v44
	s_and_saveexec_b64 s[24:25], s[0:1]
	s_cbranch_execz .LBB3_95
; %bb.90:                               ;   in Loop: Header=BB3_33 Depth=2
	global_load_dwordx2 v[38:39], v3, s[18:19] offset:24 sc0 sc1
	s_waitcnt vmcnt(0)
	buffer_inv sc0 sc1
	global_load_dwordx2 v[4:5], v3, s[18:19] offset:40
	global_load_dwordx2 v[16:17], v3, s[18:19]
	s_waitcnt vmcnt(1)
	v_and_b32_e32 v2, v4, v38
	v_and_b32_e32 v4, v5, v39
	v_mul_lo_u32 v4, v4, 24
	v_mul_hi_u32 v5, v2, 24
	v_add_u32_e32 v5, v5, v4
	v_mul_lo_u32 v4, v2, 24
	s_waitcnt vmcnt(0)
	v_lshl_add_u64 v[4:5], v[16:17], 0, v[4:5]
	global_load_dwordx2 v[36:37], v[4:5], off sc0 sc1
	s_waitcnt vmcnt(0)
	global_atomic_cmpswap_x2 v[4:5], v3, v[36:39], s[18:19] offset:24 sc0 sc1
	s_waitcnt vmcnt(0)
	buffer_inv sc0 sc1
	v_cmp_ne_u64_e32 vcc, v[4:5], v[38:39]
	s_and_saveexec_b64 s[26:27], vcc
	s_cbranch_execz .LBB3_94
; %bb.91:                               ;   in Loop: Header=BB3_33 Depth=2
	s_mov_b64 s[28:29], 0
.LBB3_92:                               ;   Parent Loop BB3_3 Depth=1
                                        ;     Parent Loop BB3_33 Depth=2
                                        ; =>    This Inner Loop Header: Depth=3
	s_sleep 1
	global_load_dwordx2 v[16:17], v3, s[18:19] offset:40
	global_load_dwordx2 v[36:37], v3, s[18:19]
	v_mov_b64_e32 v[38:39], v[4:5]
	s_waitcnt vmcnt(1)
	v_and_b32_e32 v2, v16, v38
	s_waitcnt vmcnt(0)
	v_mad_u64_u32 v[4:5], s[30:31], v2, 24, v[36:37]
	v_and_b32_e32 v13, v17, v39
	v_mov_b32_e32 v2, v5
	v_mad_u64_u32 v[16:17], s[30:31], v13, 24, v[2:3]
	v_mov_b32_e32 v5, v16
	global_load_dwordx2 v[36:37], v[4:5], off sc0 sc1
	s_waitcnt vmcnt(0)
	global_atomic_cmpswap_x2 v[4:5], v3, v[36:39], s[18:19] offset:24 sc0 sc1
	s_waitcnt vmcnt(0)
	buffer_inv sc0 sc1
	v_cmp_eq_u64_e32 vcc, v[4:5], v[38:39]
	s_or_b64 s[28:29], vcc, s[28:29]
	s_andn2_b64 exec, exec, s[28:29]
	s_cbranch_execnz .LBB3_92
; %bb.93:                               ;   in Loop: Header=BB3_33 Depth=2
	s_or_b64 exec, exec, s[28:29]
.LBB3_94:                               ;   in Loop: Header=BB3_33 Depth=2
	s_or_b64 exec, exec, s[26:27]
.LBB3_95:                               ;   in Loop: Header=BB3_33 Depth=2
	s_or_b64 exec, exec, s[24:25]
	global_load_dwordx2 v[16:17], v3, s[18:19] offset:40
	global_load_dwordx4 v[36:39], v3, s[18:19]
	v_readfirstlane_b32 s25, v5
	v_readfirstlane_b32 s24, v4
	s_mov_b64 s[26:27], exec
	s_waitcnt vmcnt(1)
	v_readfirstlane_b32 s28, v16
	v_readfirstlane_b32 s29, v17
	s_and_b64 s[28:29], s[28:29], s[24:25]
	s_mul_i32 s9, s29, 24
	s_mul_hi_u32 s30, s28, 24
	s_add_i32 s31, s30, s9
	s_mul_i32 s30, s28, 24
	s_waitcnt vmcnt(0)
	v_lshl_add_u64 v[16:17], v[36:37], 0, s[30:31]
	s_and_saveexec_b64 s[30:31], s[0:1]
	s_cbranch_execz .LBB3_97
; %bb.96:                               ;   in Loop: Header=BB3_33 Depth=2
	v_mov_b64_e32 v[4:5], s[26:27]
	global_store_dwordx4 v[16:17], v[4:7], off offset:8
.LBB3_97:                               ;   in Loop: Header=BB3_33 Depth=2
	s_or_b64 exec, exec, s[30:31]
	v_cmp_lt_u64_e64 vcc, s[20:21], 57
	s_lshl_b32 s9, s22, 2
	s_lshl_b64 s[26:27], s[28:29], 12
	v_cndmask_b32_e32 v2, 0, v12, vcc
	s_add_i32 s9, s9, 28
	v_and_b32_e32 v13, 0xffffff1f, v20
	v_lshl_add_u64 v[4:5], v[38:39], 0, s[26:27]
	s_and_b32 s9, s9, 0x1e0
	v_or_b32_e32 v2, v13, v2
	v_or_b32_e32 v20, s9, v2
	v_readfirstlane_b32 s26, v4
	v_readfirstlane_b32 s27, v5
	s_nop 4
	global_store_dwordx4 v42, v[20:23], s[26:27]
	global_store_dwordx4 v42, v[24:27], s[26:27] offset:16
	global_store_dwordx4 v42, v[28:31], s[26:27] offset:32
	;; [unrolled: 1-line block ×3, first 2 shown]
	s_and_saveexec_b64 s[26:27], s[0:1]
	s_cbranch_execz .LBB3_105
; %bb.98:                               ;   in Loop: Header=BB3_33 Depth=2
	global_load_dwordx2 v[28:29], v3, s[18:19] offset:32 sc0 sc1
	global_load_dwordx2 v[20:21], v3, s[18:19] offset:40
	v_mov_b32_e32 v26, s24
	v_mov_b32_e32 v27, s25
	s_waitcnt vmcnt(0)
	v_readfirstlane_b32 s28, v20
	v_readfirstlane_b32 s29, v21
	s_and_b64 s[28:29], s[28:29], s[24:25]
	s_mul_i32 s9, s29, 24
	s_mul_hi_u32 s29, s28, 24
	s_mul_i32 s28, s28, 24
	s_add_i32 s29, s29, s9
	v_lshl_add_u64 v[24:25], v[36:37], 0, s[28:29]
	global_store_dwordx2 v[24:25], v[28:29], off
	buffer_wbl2 sc0 sc1
	s_waitcnt vmcnt(0)
	global_atomic_cmpswap_x2 v[22:23], v3, v[26:29], s[18:19] offset:32 sc0 sc1
	s_waitcnt vmcnt(0)
	v_cmp_ne_u64_e32 vcc, v[22:23], v[28:29]
	s_and_saveexec_b64 s[28:29], vcc
	s_cbranch_execz .LBB3_101
; %bb.99:                               ;   in Loop: Header=BB3_33 Depth=2
	s_mov_b64 s[30:31], 0
.LBB3_100:                              ;   Parent Loop BB3_3 Depth=1
                                        ;     Parent Loop BB3_33 Depth=2
                                        ; =>    This Inner Loop Header: Depth=3
	s_sleep 1
	global_store_dwordx2 v[24:25], v[22:23], off
	v_mov_b32_e32 v20, s24
	v_mov_b32_e32 v21, s25
	buffer_wbl2 sc0 sc1
	s_waitcnt vmcnt(0)
	global_atomic_cmpswap_x2 v[20:21], v3, v[20:23], s[18:19] offset:32 sc0 sc1
	s_waitcnt vmcnt(0)
	v_cmp_eq_u64_e32 vcc, v[20:21], v[22:23]
	s_or_b64 s[30:31], vcc, s[30:31]
	v_mov_b64_e32 v[22:23], v[20:21]
	s_andn2_b64 exec, exec, s[30:31]
	s_cbranch_execnz .LBB3_100
.LBB3_101:                              ;   in Loop: Header=BB3_33 Depth=2
	s_or_b64 exec, exec, s[28:29]
	global_load_dwordx2 v[20:21], v3, s[18:19] offset:16
	s_mov_b64 s[30:31], exec
	v_mbcnt_lo_u32_b32 v2, s30, 0
	v_mbcnt_hi_u32_b32 v2, s31, v2
	v_cmp_eq_u32_e32 vcc, 0, v2
	s_and_saveexec_b64 s[28:29], vcc
	s_cbranch_execz .LBB3_103
; %bb.102:                              ;   in Loop: Header=BB3_33 Depth=2
	s_bcnt1_i32_b64 s9, s[30:31]
	v_mov_b32_e32 v2, s9
	buffer_wbl2 sc0 sc1
	s_waitcnt vmcnt(0)
	global_atomic_add_x2 v[20:21], v[2:3], off offset:8 sc1
.LBB3_103:                              ;   in Loop: Header=BB3_33 Depth=2
	s_or_b64 exec, exec, s[28:29]
	s_waitcnt vmcnt(0)
	global_load_dwordx2 v[22:23], v[20:21], off offset:16
	s_waitcnt vmcnt(0)
	v_cmp_eq_u64_e32 vcc, 0, v[22:23]
	s_cbranch_vccnz .LBB3_105
; %bb.104:                              ;   in Loop: Header=BB3_33 Depth=2
	global_load_dword v2, v[20:21], off offset:24
	s_waitcnt vmcnt(0)
	v_readfirstlane_b32 s9, v2
	s_and_b32 m0, s9, 0xffffff
	buffer_wbl2 sc0 sc1
	global_store_dwordx2 v[22:23], v[2:3], off sc0 sc1
	s_sendmsg sendmsg(MSG_INTERRUPT)
.LBB3_105:                              ;   in Loop: Header=BB3_33 Depth=2
	s_or_b64 exec, exec, s[26:27]
	v_mov_b32_e32 v43, v3
	v_lshl_add_u64 v[4:5], v[4:5], 0, v[42:43]
	s_branch .LBB3_109
.LBB3_106:                              ;   in Loop: Header=BB3_109 Depth=3
	s_or_b64 exec, exec, s[26:27]
	v_readfirstlane_b32 s9, v2
	s_cmp_eq_u32 s9, 0
	s_cbranch_scc1 .LBB3_108
; %bb.107:                              ;   in Loop: Header=BB3_109 Depth=3
	s_sleep 1
	s_cbranch_execnz .LBB3_109
	s_branch .LBB3_111
.LBB3_108:                              ;   in Loop: Header=BB3_33 Depth=2
	s_branch .LBB3_111
.LBB3_109:                              ;   Parent Loop BB3_3 Depth=1
                                        ;     Parent Loop BB3_33 Depth=2
                                        ; =>    This Inner Loop Header: Depth=3
	v_mov_b32_e32 v2, 1
	s_and_saveexec_b64 s[26:27], s[0:1]
	s_cbranch_execz .LBB3_106
; %bb.110:                              ;   in Loop: Header=BB3_109 Depth=3
	global_load_dword v2, v[16:17], off offset:20 sc0 sc1
	s_waitcnt vmcnt(0)
	buffer_inv sc0 sc1
	v_and_b32_e32 v2, 1, v2
	s_branch .LBB3_106
.LBB3_111:                              ;   in Loop: Header=BB3_33 Depth=2
	global_load_dwordx2 v[20:21], v[4:5], off
	s_and_saveexec_b64 s[26:27], s[0:1]
	s_cbranch_execz .LBB3_32
; %bb.112:                              ;   in Loop: Header=BB3_33 Depth=2
	global_load_dwordx2 v[4:5], v3, s[18:19] offset:40
	global_load_dwordx2 v[26:27], v3, s[18:19] offset:24 sc0 sc1
	global_load_dwordx2 v[16:17], v3, s[18:19]
	s_waitcnt vmcnt(2)
	v_readfirstlane_b32 s28, v4
	v_readfirstlane_b32 s29, v5
	s_add_u32 s9, s28, 1
	s_addc_u32 s30, s29, 0
	s_add_u32 s0, s9, s24
	s_addc_u32 s1, s30, s25
	s_cmp_eq_u64 s[0:1], 0
	s_cselect_b32 s1, s30, s1
	s_cselect_b32 s0, s9, s0
	s_and_b64 s[24:25], s[0:1], s[28:29]
	s_mul_i32 s9, s25, 24
	s_mul_hi_u32 s25, s24, 24
	s_mul_i32 s24, s24, 24
	s_add_i32 s25, s25, s9
	s_waitcnt vmcnt(0)
	v_lshl_add_u64 v[4:5], v[16:17], 0, s[24:25]
	v_mov_b32_e32 v24, s0
	global_store_dwordx2 v[4:5], v[26:27], off
	v_mov_b32_e32 v25, s1
	buffer_wbl2 sc0 sc1
	s_waitcnt vmcnt(0)
	global_atomic_cmpswap_x2 v[24:25], v3, v[24:27], s[18:19] offset:24 sc0 sc1
	s_waitcnt vmcnt(0)
	v_cmp_ne_u64_e32 vcc, v[24:25], v[26:27]
	s_and_b64 exec, exec, vcc
	s_cbranch_execz .LBB3_32
; %bb.113:                              ;   in Loop: Header=BB3_33 Depth=2
	s_mov_b64 s[24:25], 0
.LBB3_114:                              ;   Parent Loop BB3_3 Depth=1
                                        ;     Parent Loop BB3_33 Depth=2
                                        ; =>    This Inner Loop Header: Depth=3
	s_sleep 1
	global_store_dwordx2 v[4:5], v[24:25], off
	v_mov_b32_e32 v22, s0
	v_mov_b32_e32 v23, s1
	buffer_wbl2 sc0 sc1
	s_waitcnt vmcnt(0)
	global_atomic_cmpswap_x2 v[16:17], v3, v[22:25], s[18:19] offset:24 sc0 sc1
	s_waitcnt vmcnt(0)
	v_cmp_eq_u64_e32 vcc, v[16:17], v[24:25]
	s_or_b64 s[24:25], vcc, s[24:25]
	v_mov_b64_e32 v[24:25], v[16:17]
	s_andn2_b64 exec, exec, s[24:25]
	s_cbranch_execnz .LBB3_114
	s_branch .LBB3_32
.LBB3_115:                              ;   in Loop: Header=BB3_3 Depth=1
	s_branch .LBB3_144
.LBB3_116:                              ;   in Loop: Header=BB3_3 Depth=1
                                        ; implicit-def: $vgpr20_vgpr21
	s_cbranch_execz .LBB3_144
; %bb.117:                              ;   in Loop: Header=BB3_3 Depth=1
	v_readfirstlane_b32 s0, v44
	v_mov_b64_e32 v[4:5], 0
	s_nop 0
	v_cmp_eq_u32_e64 s[0:1], s0, v44
	s_and_saveexec_b64 s[10:11], s[0:1]
	s_cbranch_execz .LBB3_123
; %bb.118:                              ;   in Loop: Header=BB3_3 Depth=1
	global_load_dwordx2 v[22:23], v3, s[18:19] offset:24 sc0 sc1
	s_waitcnt vmcnt(0)
	buffer_inv sc0 sc1
	global_load_dwordx2 v[4:5], v3, s[18:19] offset:40
	global_load_dwordx2 v[12:13], v3, s[18:19]
	s_waitcnt vmcnt(1)
	v_and_b32_e32 v2, v4, v22
	v_and_b32_e32 v4, v5, v23
	v_mul_lo_u32 v4, v4, 24
	v_mul_hi_u32 v5, v2, 24
	v_add_u32_e32 v5, v5, v4
	v_mul_lo_u32 v4, v2, 24
	s_waitcnt vmcnt(0)
	v_lshl_add_u64 v[4:5], v[12:13], 0, v[4:5]
	global_load_dwordx2 v[20:21], v[4:5], off sc0 sc1
	s_waitcnt vmcnt(0)
	global_atomic_cmpswap_x2 v[4:5], v3, v[20:23], s[18:19] offset:24 sc0 sc1
	s_waitcnt vmcnt(0)
	buffer_inv sc0 sc1
	v_cmp_ne_u64_e32 vcc, v[4:5], v[22:23]
	s_and_saveexec_b64 s[20:21], vcc
	s_cbranch_execz .LBB3_122
; %bb.119:                              ;   in Loop: Header=BB3_3 Depth=1
	s_mov_b64 s[22:23], 0
.LBB3_120:                              ;   Parent Loop BB3_3 Depth=1
                                        ; =>  This Inner Loop Header: Depth=2
	s_sleep 1
	global_load_dwordx2 v[12:13], v3, s[18:19] offset:40
	global_load_dwordx2 v[16:17], v3, s[18:19]
	v_mov_b64_e32 v[22:23], v[4:5]
	s_waitcnt vmcnt(1)
	v_and_b32_e32 v2, v12, v22
	s_waitcnt vmcnt(0)
	v_mad_u64_u32 v[4:5], s[24:25], v2, 24, v[16:17]
	v_and_b32_e32 v13, v13, v23
	v_mov_b32_e32 v2, v5
	v_mad_u64_u32 v[12:13], s[24:25], v13, 24, v[2:3]
	v_mov_b32_e32 v5, v12
	global_load_dwordx2 v[20:21], v[4:5], off sc0 sc1
	s_waitcnt vmcnt(0)
	global_atomic_cmpswap_x2 v[4:5], v3, v[20:23], s[18:19] offset:24 sc0 sc1
	s_waitcnt vmcnt(0)
	buffer_inv sc0 sc1
	v_cmp_eq_u64_e32 vcc, v[4:5], v[22:23]
	s_or_b64 s[22:23], vcc, s[22:23]
	s_andn2_b64 exec, exec, s[22:23]
	s_cbranch_execnz .LBB3_120
; %bb.121:                              ;   in Loop: Header=BB3_3 Depth=1
	s_or_b64 exec, exec, s[22:23]
.LBB3_122:                              ;   in Loop: Header=BB3_3 Depth=1
	s_or_b64 exec, exec, s[20:21]
.LBB3_123:                              ;   in Loop: Header=BB3_3 Depth=1
	s_or_b64 exec, exec, s[10:11]
	global_load_dwordx2 v[12:13], v3, s[18:19] offset:40
	global_load_dwordx4 v[20:23], v3, s[18:19]
	v_readfirstlane_b32 s21, v5
	v_readfirstlane_b32 s20, v4
	s_mov_b64 s[10:11], exec
	s_waitcnt vmcnt(1)
	v_readfirstlane_b32 s22, v12
	v_readfirstlane_b32 s23, v13
	s_and_b64 s[22:23], s[22:23], s[20:21]
	s_mul_i32 s9, s23, 24
	s_mul_hi_u32 s24, s22, 24
	s_add_i32 s25, s24, s9
	s_mul_i32 s24, s22, 24
	s_waitcnt vmcnt(0)
	v_lshl_add_u64 v[12:13], v[20:21], 0, s[24:25]
	s_and_saveexec_b64 s[24:25], s[0:1]
	s_cbranch_execz .LBB3_125
; %bb.124:                              ;   in Loop: Header=BB3_3 Depth=1
	v_mov_b64_e32 v[4:5], s[10:11]
	global_store_dwordx4 v[12:13], v[4:7], off offset:8
.LBB3_125:                              ;   in Loop: Header=BB3_3 Depth=1
	s_or_b64 exec, exec, s[24:25]
	s_lshl_b64 s[10:11], s[22:23], 12
	v_lshl_add_u64 v[4:5], v[22:23], 0, s[10:11]
	s_mov_b32 s10, s8
	s_mov_b32 s11, s8
	;; [unrolled: 1-line block ×3, first 2 shown]
	v_mov_b64_e32 v[24:25], s[10:11]
	v_and_or_b32 v0, v0, s35, 32
	v_mov_b32_e32 v2, v3
	v_readfirstlane_b32 s22, v4
	v_readfirstlane_b32 s23, v5
	v_mov_b64_e32 v[22:23], s[8:9]
	s_nop 3
	global_store_dwordx4 v42, v[0:3], s[22:23]
	global_store_dwordx4 v42, v[22:25], s[22:23] offset:16
	global_store_dwordx4 v42, v[22:25], s[22:23] offset:32
	;; [unrolled: 1-line block ×3, first 2 shown]
	s_and_saveexec_b64 s[10:11], s[0:1]
	s_cbranch_execz .LBB3_133
; %bb.126:                              ;   in Loop: Header=BB3_3 Depth=1
	global_load_dwordx2 v[24:25], v3, s[18:19] offset:32 sc0 sc1
	global_load_dwordx2 v[0:1], v3, s[18:19] offset:40
	v_mov_b32_e32 v22, s20
	v_mov_b32_e32 v23, s21
	s_waitcnt vmcnt(0)
	v_readfirstlane_b32 s22, v0
	v_readfirstlane_b32 s23, v1
	s_and_b64 s[22:23], s[22:23], s[20:21]
	s_mul_i32 s9, s23, 24
	s_mul_hi_u32 s23, s22, 24
	s_mul_i32 s22, s22, 24
	s_add_i32 s23, s23, s9
	v_lshl_add_u64 v[0:1], v[20:21], 0, s[22:23]
	global_store_dwordx2 v[0:1], v[24:25], off
	buffer_wbl2 sc0 sc1
	s_waitcnt vmcnt(0)
	global_atomic_cmpswap_x2 v[22:23], v3, v[22:25], s[18:19] offset:32 sc0 sc1
	s_waitcnt vmcnt(0)
	v_cmp_ne_u64_e32 vcc, v[22:23], v[24:25]
	s_and_saveexec_b64 s[22:23], vcc
	s_cbranch_execz .LBB3_129
; %bb.127:                              ;   in Loop: Header=BB3_3 Depth=1
	s_mov_b64 s[24:25], 0
.LBB3_128:                              ;   Parent Loop BB3_3 Depth=1
                                        ; =>  This Inner Loop Header: Depth=2
	s_sleep 1
	global_store_dwordx2 v[0:1], v[22:23], off
	v_mov_b32_e32 v20, s20
	v_mov_b32_e32 v21, s21
	buffer_wbl2 sc0 sc1
	s_waitcnt vmcnt(0)
	global_atomic_cmpswap_x2 v[16:17], v3, v[20:23], s[18:19] offset:32 sc0 sc1
	s_waitcnt vmcnt(0)
	v_cmp_eq_u64_e32 vcc, v[16:17], v[22:23]
	s_or_b64 s[24:25], vcc, s[24:25]
	v_mov_b64_e32 v[22:23], v[16:17]
	s_andn2_b64 exec, exec, s[24:25]
	s_cbranch_execnz .LBB3_128
.LBB3_129:                              ;   in Loop: Header=BB3_3 Depth=1
	s_or_b64 exec, exec, s[22:23]
	global_load_dwordx2 v[0:1], v3, s[18:19] offset:16
	s_mov_b64 s[24:25], exec
	v_mbcnt_lo_u32_b32 v2, s24, 0
	v_mbcnt_hi_u32_b32 v2, s25, v2
	v_cmp_eq_u32_e32 vcc, 0, v2
	s_and_saveexec_b64 s[22:23], vcc
	s_cbranch_execz .LBB3_131
; %bb.130:                              ;   in Loop: Header=BB3_3 Depth=1
	s_bcnt1_i32_b64 s9, s[24:25]
	v_mov_b32_e32 v2, s9
	buffer_wbl2 sc0 sc1
	s_waitcnt vmcnt(0)
	global_atomic_add_x2 v[0:1], v[2:3], off offset:8 sc1
.LBB3_131:                              ;   in Loop: Header=BB3_3 Depth=1
	s_or_b64 exec, exec, s[22:23]
	s_waitcnt vmcnt(0)
	global_load_dwordx2 v[16:17], v[0:1], off offset:16
	s_waitcnt vmcnt(0)
	v_cmp_eq_u64_e32 vcc, 0, v[16:17]
	s_cbranch_vccnz .LBB3_133
; %bb.132:                              ;   in Loop: Header=BB3_3 Depth=1
	global_load_dword v2, v[0:1], off offset:24
	s_waitcnt vmcnt(0)
	v_readfirstlane_b32 s9, v2
	s_and_b32 m0, s9, 0xffffff
	buffer_wbl2 sc0 sc1
	global_store_dwordx2 v[16:17], v[2:3], off sc0 sc1
	s_sendmsg sendmsg(MSG_INTERRUPT)
.LBB3_133:                              ;   in Loop: Header=BB3_3 Depth=1
	s_or_b64 exec, exec, s[10:11]
	v_mov_b32_e32 v43, v3
	v_lshl_add_u64 v[0:1], v[4:5], 0, v[42:43]
	s_branch .LBB3_137
.LBB3_134:                              ;   in Loop: Header=BB3_137 Depth=2
	s_or_b64 exec, exec, s[10:11]
	v_readfirstlane_b32 s9, v2
	s_cmp_eq_u32 s9, 0
	s_cbranch_scc1 .LBB3_136
; %bb.135:                              ;   in Loop: Header=BB3_137 Depth=2
	s_sleep 1
	s_cbranch_execnz .LBB3_137
	s_branch .LBB3_139
.LBB3_136:                              ;   in Loop: Header=BB3_3 Depth=1
	s_branch .LBB3_139
.LBB3_137:                              ;   Parent Loop BB3_3 Depth=1
                                        ; =>  This Inner Loop Header: Depth=2
	v_mov_b32_e32 v2, 1
	s_and_saveexec_b64 s[10:11], s[0:1]
	s_cbranch_execz .LBB3_134
; %bb.138:                              ;   in Loop: Header=BB3_137 Depth=2
	global_load_dword v2, v[12:13], off offset:20 sc0 sc1
	s_waitcnt vmcnt(0)
	buffer_inv sc0 sc1
	v_and_b32_e32 v2, 1, v2
	s_branch .LBB3_134
.LBB3_139:                              ;   in Loop: Header=BB3_3 Depth=1
	global_load_dwordx2 v[20:21], v[0:1], off
	s_and_saveexec_b64 s[10:11], s[0:1]
	s_cbranch_execz .LBB3_143
; %bb.140:                              ;   in Loop: Header=BB3_3 Depth=1
	global_load_dwordx2 v[0:1], v3, s[18:19] offset:40
	global_load_dwordx2 v[26:27], v3, s[18:19] offset:24 sc0 sc1
	global_load_dwordx2 v[4:5], v3, s[18:19]
	s_waitcnt vmcnt(2)
	v_readfirstlane_b32 s22, v0
	v_readfirstlane_b32 s23, v1
	s_add_u32 s9, s22, 1
	s_addc_u32 s24, s23, 0
	s_add_u32 s0, s9, s20
	s_addc_u32 s1, s24, s21
	s_cmp_eq_u64 s[0:1], 0
	s_cselect_b32 s1, s24, s1
	s_cselect_b32 s0, s9, s0
	s_and_b64 s[20:21], s[0:1], s[22:23]
	s_mul_i32 s9, s21, 24
	s_mul_hi_u32 s21, s20, 24
	s_mul_i32 s20, s20, 24
	s_add_i32 s21, s21, s9
	s_waitcnt vmcnt(0)
	v_lshl_add_u64 v[0:1], v[4:5], 0, s[20:21]
	v_mov_b32_e32 v24, s0
	global_store_dwordx2 v[0:1], v[26:27], off
	v_mov_b32_e32 v25, s1
	buffer_wbl2 sc0 sc1
	s_waitcnt vmcnt(0)
	global_atomic_cmpswap_x2 v[24:25], v3, v[24:27], s[18:19] offset:24 sc0 sc1
	s_waitcnt vmcnt(0)
	v_cmp_ne_u64_e32 vcc, v[24:25], v[26:27]
	s_and_b64 exec, exec, vcc
	s_cbranch_execz .LBB3_143
; %bb.141:                              ;   in Loop: Header=BB3_3 Depth=1
	s_mov_b64 s[20:21], 0
.LBB3_142:                              ;   Parent Loop BB3_3 Depth=1
                                        ; =>  This Inner Loop Header: Depth=2
	s_sleep 1
	global_store_dwordx2 v[0:1], v[24:25], off
	v_mov_b32_e32 v22, s0
	v_mov_b32_e32 v23, s1
	buffer_wbl2 sc0 sc1
	s_waitcnt vmcnt(0)
	global_atomic_cmpswap_x2 v[4:5], v3, v[22:25], s[18:19] offset:24 sc0 sc1
	s_waitcnt vmcnt(0)
	v_cmp_eq_u64_e32 vcc, v[4:5], v[24:25]
	s_or_b64 s[20:21], vcc, s[20:21]
	v_mov_b64_e32 v[24:25], v[4:5]
	s_andn2_b64 exec, exec, s[20:21]
	s_cbranch_execnz .LBB3_142
.LBB3_143:                              ;   in Loop: Header=BB3_3 Depth=1
	s_or_b64 exec, exec, s[10:11]
.LBB3_144:                              ;   in Loop: Header=BB3_3 Depth=1
	v_readfirstlane_b32 s0, v44
	s_waitcnt vmcnt(0)
	v_mov_b64_e32 v[0:1], 0
	v_cmp_eq_u32_e64 s[0:1], s0, v44
	s_and_saveexec_b64 s[10:11], s[0:1]
	s_cbranch_execz .LBB3_150
; %bb.145:                              ;   in Loop: Header=BB3_3 Depth=1
	global_load_dwordx2 v[24:25], v3, s[18:19] offset:24 sc0 sc1
	s_waitcnt vmcnt(0)
	buffer_inv sc0 sc1
	global_load_dwordx2 v[0:1], v3, s[18:19] offset:40
	global_load_dwordx2 v[4:5], v3, s[18:19]
	s_waitcnt vmcnt(1)
	v_and_b32_e32 v0, v0, v24
	v_and_b32_e32 v1, v1, v25
	v_mul_lo_u32 v1, v1, 24
	v_mul_hi_u32 v2, v0, 24
	v_add_u32_e32 v1, v2, v1
	v_mul_lo_u32 v0, v0, 24
	s_waitcnt vmcnt(0)
	v_lshl_add_u64 v[0:1], v[4:5], 0, v[0:1]
	global_load_dwordx2 v[22:23], v[0:1], off sc0 sc1
	s_waitcnt vmcnt(0)
	global_atomic_cmpswap_x2 v[0:1], v3, v[22:25], s[18:19] offset:24 sc0 sc1
	s_waitcnt vmcnt(0)
	buffer_inv sc0 sc1
	v_cmp_ne_u64_e32 vcc, v[0:1], v[24:25]
	s_and_saveexec_b64 s[20:21], vcc
	s_cbranch_execz .LBB3_149
; %bb.146:                              ;   in Loop: Header=BB3_3 Depth=1
	s_mov_b64 s[22:23], 0
.LBB3_147:                              ;   Parent Loop BB3_3 Depth=1
                                        ; =>  This Inner Loop Header: Depth=2
	s_sleep 1
	global_load_dwordx2 v[4:5], v3, s[18:19] offset:40
	global_load_dwordx2 v[12:13], v3, s[18:19]
	v_mov_b64_e32 v[24:25], v[0:1]
	s_waitcnt vmcnt(1)
	v_and_b32_e32 v0, v4, v24
	s_waitcnt vmcnt(0)
	v_mad_u64_u32 v[0:1], s[24:25], v0, 24, v[12:13]
	v_and_b32_e32 v5, v5, v25
	v_mov_b32_e32 v2, v1
	v_mad_u64_u32 v[4:5], s[24:25], v5, 24, v[2:3]
	v_mov_b32_e32 v1, v4
	global_load_dwordx2 v[22:23], v[0:1], off sc0 sc1
	s_waitcnt vmcnt(0)
	global_atomic_cmpswap_x2 v[0:1], v3, v[22:25], s[18:19] offset:24 sc0 sc1
	s_waitcnt vmcnt(0)
	buffer_inv sc0 sc1
	v_cmp_eq_u64_e32 vcc, v[0:1], v[24:25]
	s_or_b64 s[22:23], vcc, s[22:23]
	s_andn2_b64 exec, exec, s[22:23]
	s_cbranch_execnz .LBB3_147
; %bb.148:                              ;   in Loop: Header=BB3_3 Depth=1
	s_or_b64 exec, exec, s[22:23]
.LBB3_149:                              ;   in Loop: Header=BB3_3 Depth=1
	s_or_b64 exec, exec, s[20:21]
.LBB3_150:                              ;   in Loop: Header=BB3_3 Depth=1
	s_or_b64 exec, exec, s[10:11]
	global_load_dwordx2 v[4:5], v3, s[18:19] offset:40
	global_load_dwordx4 v[24:27], v3, s[18:19]
	v_readfirstlane_b32 s21, v1
	v_readfirstlane_b32 s20, v0
	s_mov_b64 s[10:11], exec
	s_waitcnt vmcnt(1)
	v_readfirstlane_b32 s22, v4
	v_readfirstlane_b32 s23, v5
	s_and_b64 s[22:23], s[22:23], s[20:21]
	s_mul_i32 s9, s23, 24
	s_mul_hi_u32 s24, s22, 24
	s_add_i32 s25, s24, s9
	s_mul_i32 s24, s22, 24
	s_waitcnt vmcnt(0)
	v_lshl_add_u64 v[0:1], v[24:25], 0, s[24:25]
	s_and_saveexec_b64 s[24:25], s[0:1]
	s_cbranch_execz .LBB3_152
; %bb.151:                              ;   in Loop: Header=BB3_3 Depth=1
	v_mov_b64_e32 v[4:5], s[10:11]
	global_store_dwordx4 v[0:1], v[4:7], off offset:8
.LBB3_152:                              ;   in Loop: Header=BB3_3 Depth=1
	s_or_b64 exec, exec, s[24:25]
	s_lshl_b64 s[10:11], s[22:23], 12
	v_lshl_add_u64 v[4:5], v[26:27], 0, s[10:11]
	v_and_or_b32 v20, v20, s35, 32
	v_mov_b32_e32 v22, v40
	v_mov_b32_e32 v23, v3
	v_readfirstlane_b32 s22, v4
	v_readfirstlane_b32 s23, v5
	s_mov_b32 s10, s8
	s_mov_b32 s11, s8
	;; [unrolled: 1-line block ×3, first 2 shown]
	s_nop 1
	global_store_dwordx4 v42, v[20:23], s[22:23]
	s_nop 1
	v_mov_b64_e32 v[22:23], s[10:11]
	v_mov_b64_e32 v[20:21], s[8:9]
	global_store_dwordx4 v42, v[20:23], s[22:23] offset:16
	global_store_dwordx4 v42, v[20:23], s[22:23] offset:32
	;; [unrolled: 1-line block ×3, first 2 shown]
	s_and_saveexec_b64 s[10:11], s[0:1]
	s_cbranch_execz .LBB3_160
; %bb.153:                              ;   in Loop: Header=BB3_3 Depth=1
	global_load_dwordx2 v[28:29], v3, s[18:19] offset:32 sc0 sc1
	global_load_dwordx2 v[12:13], v3, s[18:19] offset:40
	v_mov_b32_e32 v26, s20
	v_mov_b32_e32 v27, s21
	s_waitcnt vmcnt(0)
	v_readfirstlane_b32 s22, v12
	v_readfirstlane_b32 s23, v13
	s_and_b64 s[22:23], s[22:23], s[20:21]
	s_mul_i32 s9, s23, 24
	s_mul_hi_u32 s23, s22, 24
	s_mul_i32 s22, s22, 24
	s_add_i32 s23, s23, s9
	v_lshl_add_u64 v[12:13], v[24:25], 0, s[22:23]
	global_store_dwordx2 v[12:13], v[28:29], off
	buffer_wbl2 sc0 sc1
	s_waitcnt vmcnt(0)
	global_atomic_cmpswap_x2 v[22:23], v3, v[26:29], s[18:19] offset:32 sc0 sc1
	s_waitcnt vmcnt(0)
	v_cmp_ne_u64_e32 vcc, v[22:23], v[28:29]
	s_and_saveexec_b64 s[22:23], vcc
	s_cbranch_execz .LBB3_156
; %bb.154:                              ;   in Loop: Header=BB3_3 Depth=1
	s_mov_b64 s[24:25], 0
.LBB3_155:                              ;   Parent Loop BB3_3 Depth=1
                                        ; =>  This Inner Loop Header: Depth=2
	s_sleep 1
	global_store_dwordx2 v[12:13], v[22:23], off
	v_mov_b32_e32 v20, s20
	v_mov_b32_e32 v21, s21
	buffer_wbl2 sc0 sc1
	s_waitcnt vmcnt(0)
	global_atomic_cmpswap_x2 v[16:17], v3, v[20:23], s[18:19] offset:32 sc0 sc1
	s_waitcnt vmcnt(0)
	v_cmp_eq_u64_e32 vcc, v[16:17], v[22:23]
	s_or_b64 s[24:25], vcc, s[24:25]
	v_mov_b64_e32 v[22:23], v[16:17]
	s_andn2_b64 exec, exec, s[24:25]
	s_cbranch_execnz .LBB3_155
.LBB3_156:                              ;   in Loop: Header=BB3_3 Depth=1
	s_or_b64 exec, exec, s[22:23]
	global_load_dwordx2 v[12:13], v3, s[18:19] offset:16
	s_mov_b64 s[24:25], exec
	v_mbcnt_lo_u32_b32 v2, s24, 0
	v_mbcnt_hi_u32_b32 v2, s25, v2
	v_cmp_eq_u32_e32 vcc, 0, v2
	s_and_saveexec_b64 s[22:23], vcc
	s_cbranch_execz .LBB3_158
; %bb.157:                              ;   in Loop: Header=BB3_3 Depth=1
	s_bcnt1_i32_b64 s9, s[24:25]
	v_mov_b32_e32 v2, s9
	buffer_wbl2 sc0 sc1
	s_waitcnt vmcnt(0)
	global_atomic_add_x2 v[12:13], v[2:3], off offset:8 sc1
.LBB3_158:                              ;   in Loop: Header=BB3_3 Depth=1
	s_or_b64 exec, exec, s[22:23]
	s_waitcnt vmcnt(0)
	global_load_dwordx2 v[16:17], v[12:13], off offset:16
	s_waitcnt vmcnt(0)
	v_cmp_eq_u64_e32 vcc, 0, v[16:17]
	s_cbranch_vccnz .LBB3_160
; %bb.159:                              ;   in Loop: Header=BB3_3 Depth=1
	global_load_dword v2, v[12:13], off offset:24
	s_waitcnt vmcnt(0)
	v_readfirstlane_b32 s9, v2
	s_and_b32 m0, s9, 0xffffff
	buffer_wbl2 sc0 sc1
	global_store_dwordx2 v[16:17], v[2:3], off sc0 sc1
	s_sendmsg sendmsg(MSG_INTERRUPT)
.LBB3_160:                              ;   in Loop: Header=BB3_3 Depth=1
	s_or_b64 exec, exec, s[10:11]
	v_mov_b32_e32 v43, v3
	v_lshl_add_u64 v[4:5], v[4:5], 0, v[42:43]
	s_branch .LBB3_164
.LBB3_161:                              ;   in Loop: Header=BB3_164 Depth=2
	s_or_b64 exec, exec, s[10:11]
	v_readfirstlane_b32 s9, v2
	s_cmp_eq_u32 s9, 0
	s_cbranch_scc1 .LBB3_163
; %bb.162:                              ;   in Loop: Header=BB3_164 Depth=2
	s_sleep 1
	s_cbranch_execnz .LBB3_164
	s_branch .LBB3_166
.LBB3_163:                              ;   in Loop: Header=BB3_3 Depth=1
	s_branch .LBB3_166
.LBB3_164:                              ;   Parent Loop BB3_3 Depth=1
                                        ; =>  This Inner Loop Header: Depth=2
	v_mov_b32_e32 v2, 1
	s_and_saveexec_b64 s[10:11], s[0:1]
	s_cbranch_execz .LBB3_161
; %bb.165:                              ;   in Loop: Header=BB3_164 Depth=2
	global_load_dword v2, v[0:1], off offset:20 sc0 sc1
	s_waitcnt vmcnt(0)
	buffer_inv sc0 sc1
	v_and_b32_e32 v2, 1, v2
	s_branch .LBB3_161
.LBB3_166:                              ;   in Loop: Header=BB3_3 Depth=1
	global_load_dwordx2 v[16:17], v[4:5], off
	s_and_saveexec_b64 s[10:11], s[0:1]
	s_cbranch_execz .LBB3_170
; %bb.167:                              ;   in Loop: Header=BB3_3 Depth=1
	global_load_dwordx2 v[0:1], v3, s[18:19] offset:40
	global_load_dwordx2 v[24:25], v3, s[18:19] offset:24 sc0 sc1
	global_load_dwordx2 v[4:5], v3, s[18:19]
	s_waitcnt vmcnt(2)
	v_readfirstlane_b32 s22, v0
	v_readfirstlane_b32 s23, v1
	s_add_u32 s9, s22, 1
	s_addc_u32 s24, s23, 0
	s_add_u32 s0, s9, s20
	s_addc_u32 s1, s24, s21
	s_cmp_eq_u64 s[0:1], 0
	s_cselect_b32 s1, s24, s1
	s_cselect_b32 s0, s9, s0
	s_and_b64 s[20:21], s[0:1], s[22:23]
	s_mul_i32 s9, s21, 24
	s_mul_hi_u32 s21, s20, 24
	s_mul_i32 s20, s20, 24
	s_add_i32 s21, s21, s9
	s_waitcnt vmcnt(0)
	v_lshl_add_u64 v[0:1], v[4:5], 0, s[20:21]
	v_mov_b32_e32 v22, s0
	global_store_dwordx2 v[0:1], v[24:25], off
	v_mov_b32_e32 v23, s1
	buffer_wbl2 sc0 sc1
	s_waitcnt vmcnt(0)
	global_atomic_cmpswap_x2 v[22:23], v3, v[22:25], s[18:19] offset:24 sc0 sc1
	s_waitcnt vmcnt(0)
	v_cmp_ne_u64_e32 vcc, v[22:23], v[24:25]
	s_and_b64 exec, exec, vcc
	s_cbranch_execz .LBB3_170
; %bb.168:                              ;   in Loop: Header=BB3_3 Depth=1
	s_mov_b64 s[20:21], 0
.LBB3_169:                              ;   Parent Loop BB3_3 Depth=1
                                        ; =>  This Inner Loop Header: Depth=2
	s_sleep 1
	global_store_dwordx2 v[0:1], v[22:23], off
	v_mov_b32_e32 v20, s0
	v_mov_b32_e32 v21, s1
	buffer_wbl2 sc0 sc1
	s_waitcnt vmcnt(0)
	global_atomic_cmpswap_x2 v[4:5], v3, v[20:23], s[18:19] offset:24 sc0 sc1
	s_waitcnt vmcnt(0)
	v_cmp_eq_u64_e32 vcc, v[4:5], v[22:23]
	s_or_b64 s[20:21], vcc, s[20:21]
	v_mov_b64_e32 v[22:23], v[4:5]
	s_andn2_b64 exec, exec, s[20:21]
	s_cbranch_execnz .LBB3_169
.LBB3_170:                              ;   in Loop: Header=BB3_3 Depth=1
	s_or_b64 exec, exec, s[10:11]
	v_readfirstlane_b32 s0, v44
	v_mov_b64_e32 v[0:1], 0
	s_nop 0
	v_cmp_eq_u32_e64 s[0:1], s0, v44
	s_and_saveexec_b64 s[10:11], s[0:1]
	s_cbranch_execz .LBB3_176
; %bb.171:                              ;   in Loop: Header=BB3_3 Depth=1
	global_load_dwordx2 v[22:23], v3, s[18:19] offset:24 sc0 sc1
	s_waitcnt vmcnt(0)
	buffer_inv sc0 sc1
	global_load_dwordx2 v[0:1], v3, s[18:19] offset:40
	global_load_dwordx2 v[4:5], v3, s[18:19]
	s_waitcnt vmcnt(1)
	v_and_b32_e32 v0, v0, v22
	v_and_b32_e32 v1, v1, v23
	v_mul_lo_u32 v1, v1, 24
	v_mul_hi_u32 v2, v0, 24
	v_add_u32_e32 v1, v2, v1
	v_mul_lo_u32 v0, v0, 24
	s_waitcnt vmcnt(0)
	v_lshl_add_u64 v[0:1], v[4:5], 0, v[0:1]
	global_load_dwordx2 v[20:21], v[0:1], off sc0 sc1
	s_waitcnt vmcnt(0)
	global_atomic_cmpswap_x2 v[0:1], v3, v[20:23], s[18:19] offset:24 sc0 sc1
	s_waitcnt vmcnt(0)
	buffer_inv sc0 sc1
	v_cmp_ne_u64_e32 vcc, v[0:1], v[22:23]
	s_and_saveexec_b64 s[20:21], vcc
	s_cbranch_execz .LBB3_175
; %bb.172:                              ;   in Loop: Header=BB3_3 Depth=1
	s_mov_b64 s[22:23], 0
.LBB3_173:                              ;   Parent Loop BB3_3 Depth=1
                                        ; =>  This Inner Loop Header: Depth=2
	s_sleep 1
	global_load_dwordx2 v[4:5], v3, s[18:19] offset:40
	global_load_dwordx2 v[12:13], v3, s[18:19]
	v_mov_b64_e32 v[22:23], v[0:1]
	s_waitcnt vmcnt(1)
	v_and_b32_e32 v0, v4, v22
	s_waitcnt vmcnt(0)
	v_mad_u64_u32 v[0:1], s[24:25], v0, 24, v[12:13]
	v_and_b32_e32 v5, v5, v23
	v_mov_b32_e32 v2, v1
	v_mad_u64_u32 v[4:5], s[24:25], v5, 24, v[2:3]
	v_mov_b32_e32 v1, v4
	global_load_dwordx2 v[20:21], v[0:1], off sc0 sc1
	s_waitcnt vmcnt(0)
	global_atomic_cmpswap_x2 v[0:1], v3, v[20:23], s[18:19] offset:24 sc0 sc1
	s_waitcnt vmcnt(0)
	buffer_inv sc0 sc1
	v_cmp_eq_u64_e32 vcc, v[0:1], v[22:23]
	s_or_b64 s[22:23], vcc, s[22:23]
	s_andn2_b64 exec, exec, s[22:23]
	s_cbranch_execnz .LBB3_173
; %bb.174:                              ;   in Loop: Header=BB3_3 Depth=1
	s_or_b64 exec, exec, s[22:23]
.LBB3_175:                              ;   in Loop: Header=BB3_3 Depth=1
	s_or_b64 exec, exec, s[20:21]
.LBB3_176:                              ;   in Loop: Header=BB3_3 Depth=1
	s_or_b64 exec, exec, s[10:11]
	global_load_dwordx2 v[4:5], v3, s[18:19] offset:40
	global_load_dwordx4 v[20:23], v3, s[18:19]
	v_readfirstlane_b32 s21, v1
	v_readfirstlane_b32 s20, v0
	s_mov_b64 s[10:11], exec
	s_waitcnt vmcnt(1)
	v_readfirstlane_b32 s22, v4
	v_readfirstlane_b32 s23, v5
	s_and_b64 s[22:23], s[22:23], s[20:21]
	s_mul_i32 s9, s23, 24
	s_mul_hi_u32 s24, s22, 24
	s_add_i32 s25, s24, s9
	s_mul_i32 s24, s22, 24
	s_waitcnt vmcnt(0)
	v_lshl_add_u64 v[0:1], v[20:21], 0, s[24:25]
	s_and_saveexec_b64 s[24:25], s[0:1]
	s_cbranch_execz .LBB3_178
; %bb.177:                              ;   in Loop: Header=BB3_3 Depth=1
	v_mov_b64_e32 v[4:5], s[10:11]
	global_store_dwordx4 v[0:1], v[4:7], off offset:8
.LBB3_178:                              ;   in Loop: Header=BB3_3 Depth=1
	s_or_b64 exec, exec, s[24:25]
	s_lshl_b64 s[10:11], s[22:23], 12
	v_lshl_add_u64 v[4:5], v[22:23], 0, s[10:11]
	v_and_or_b32 v16, v16, s35, 32
	v_readfirstlane_b32 s22, v4
	v_readfirstlane_b32 s23, v5
	s_mov_b32 s10, s8
	s_mov_b32 s11, s8
	;; [unrolled: 1-line block ×3, first 2 shown]
	s_nop 1
	global_store_dwordx4 v42, v[16:19], s[22:23]
	s_nop 1
	v_mov_b64_e32 v[18:19], s[10:11]
	v_mov_b64_e32 v[16:17], s[8:9]
	global_store_dwordx4 v42, v[16:19], s[22:23] offset:16
	global_store_dwordx4 v42, v[16:19], s[22:23] offset:32
	;; [unrolled: 1-line block ×3, first 2 shown]
	s_and_saveexec_b64 s[10:11], s[0:1]
	s_cbranch_execz .LBB3_186
; %bb.179:                              ;   in Loop: Header=BB3_3 Depth=1
	global_load_dwordx2 v[24:25], v3, s[18:19] offset:32 sc0 sc1
	global_load_dwordx2 v[12:13], v3, s[18:19] offset:40
	v_mov_b32_e32 v22, s20
	v_mov_b32_e32 v23, s21
	s_waitcnt vmcnt(0)
	v_readfirstlane_b32 s22, v12
	v_readfirstlane_b32 s23, v13
	s_and_b64 s[22:23], s[22:23], s[20:21]
	s_mul_i32 s9, s23, 24
	s_mul_hi_u32 s23, s22, 24
	s_mul_i32 s22, s22, 24
	s_add_i32 s23, s23, s9
	v_lshl_add_u64 v[12:13], v[20:21], 0, s[22:23]
	global_store_dwordx2 v[12:13], v[24:25], off
	buffer_wbl2 sc0 sc1
	s_waitcnt vmcnt(0)
	global_atomic_cmpswap_x2 v[18:19], v3, v[22:25], s[18:19] offset:32 sc0 sc1
	s_waitcnt vmcnt(0)
	v_cmp_ne_u64_e32 vcc, v[18:19], v[24:25]
	s_and_saveexec_b64 s[22:23], vcc
	s_cbranch_execz .LBB3_182
; %bb.180:                              ;   in Loop: Header=BB3_3 Depth=1
	s_mov_b64 s[24:25], 0
.LBB3_181:                              ;   Parent Loop BB3_3 Depth=1
                                        ; =>  This Inner Loop Header: Depth=2
	s_sleep 1
	global_store_dwordx2 v[12:13], v[18:19], off
	v_mov_b32_e32 v16, s20
	v_mov_b32_e32 v17, s21
	buffer_wbl2 sc0 sc1
	s_waitcnt vmcnt(0)
	global_atomic_cmpswap_x2 v[16:17], v3, v[16:19], s[18:19] offset:32 sc0 sc1
	s_waitcnt vmcnt(0)
	v_cmp_eq_u64_e32 vcc, v[16:17], v[18:19]
	s_or_b64 s[24:25], vcc, s[24:25]
	v_mov_b64_e32 v[18:19], v[16:17]
	s_andn2_b64 exec, exec, s[24:25]
	s_cbranch_execnz .LBB3_181
.LBB3_182:                              ;   in Loop: Header=BB3_3 Depth=1
	s_or_b64 exec, exec, s[22:23]
	global_load_dwordx2 v[12:13], v3, s[18:19] offset:16
	s_mov_b64 s[24:25], exec
	v_mbcnt_lo_u32_b32 v2, s24, 0
	v_mbcnt_hi_u32_b32 v2, s25, v2
	v_cmp_eq_u32_e32 vcc, 0, v2
	s_and_saveexec_b64 s[22:23], vcc
	s_cbranch_execz .LBB3_184
; %bb.183:                              ;   in Loop: Header=BB3_3 Depth=1
	s_bcnt1_i32_b64 s9, s[24:25]
	v_mov_b32_e32 v2, s9
	buffer_wbl2 sc0 sc1
	s_waitcnt vmcnt(0)
	global_atomic_add_x2 v[12:13], v[2:3], off offset:8 sc1
.LBB3_184:                              ;   in Loop: Header=BB3_3 Depth=1
	s_or_b64 exec, exec, s[22:23]
	s_waitcnt vmcnt(0)
	global_load_dwordx2 v[16:17], v[12:13], off offset:16
	s_waitcnt vmcnt(0)
	v_cmp_eq_u64_e32 vcc, 0, v[16:17]
	s_cbranch_vccnz .LBB3_186
; %bb.185:                              ;   in Loop: Header=BB3_3 Depth=1
	global_load_dword v2, v[12:13], off offset:24
	s_waitcnt vmcnt(0)
	v_readfirstlane_b32 s9, v2
	s_and_b32 m0, s9, 0xffffff
	buffer_wbl2 sc0 sc1
	global_store_dwordx2 v[16:17], v[2:3], off sc0 sc1
	s_sendmsg sendmsg(MSG_INTERRUPT)
.LBB3_186:                              ;   in Loop: Header=BB3_3 Depth=1
	s_or_b64 exec, exec, s[10:11]
	v_mov_b32_e32 v43, v3
	v_lshl_add_u64 v[4:5], v[4:5], 0, v[42:43]
	s_branch .LBB3_190
.LBB3_187:                              ;   in Loop: Header=BB3_190 Depth=2
	s_or_b64 exec, exec, s[10:11]
	v_readfirstlane_b32 s9, v2
	s_cmp_eq_u32 s9, 0
	s_cbranch_scc1 .LBB3_189
; %bb.188:                              ;   in Loop: Header=BB3_190 Depth=2
	s_sleep 1
	s_cbranch_execnz .LBB3_190
	s_branch .LBB3_192
.LBB3_189:                              ;   in Loop: Header=BB3_3 Depth=1
	s_branch .LBB3_192
.LBB3_190:                              ;   Parent Loop BB3_3 Depth=1
                                        ; =>  This Inner Loop Header: Depth=2
	v_mov_b32_e32 v2, 1
	s_and_saveexec_b64 s[10:11], s[0:1]
	s_cbranch_execz .LBB3_187
; %bb.191:                              ;   in Loop: Header=BB3_190 Depth=2
	global_load_dword v2, v[0:1], off offset:20 sc0 sc1
	s_waitcnt vmcnt(0)
	buffer_inv sc0 sc1
	v_and_b32_e32 v2, 1, v2
	s_branch .LBB3_187
.LBB3_192:                              ;   in Loop: Header=BB3_3 Depth=1
	global_load_dwordx2 v[12:13], v[4:5], off
	s_and_saveexec_b64 s[10:11], s[0:1]
	s_cbranch_execz .LBB3_196
; %bb.193:                              ;   in Loop: Header=BB3_3 Depth=1
	global_load_dwordx2 v[0:1], v3, s[18:19] offset:40
	global_load_dwordx2 v[20:21], v3, s[18:19] offset:24 sc0 sc1
	global_load_dwordx2 v[4:5], v3, s[18:19]
	s_waitcnt vmcnt(2)
	v_readfirstlane_b32 s22, v0
	v_readfirstlane_b32 s23, v1
	s_add_u32 s9, s22, 1
	s_addc_u32 s24, s23, 0
	s_add_u32 s0, s9, s20
	s_addc_u32 s1, s24, s21
	s_cmp_eq_u64 s[0:1], 0
	s_cselect_b32 s1, s24, s1
	s_cselect_b32 s0, s9, s0
	s_and_b64 s[20:21], s[0:1], s[22:23]
	s_mul_i32 s9, s21, 24
	s_mul_hi_u32 s21, s20, 24
	s_mul_i32 s20, s20, 24
	s_add_i32 s21, s21, s9
	s_waitcnt vmcnt(0)
	v_lshl_add_u64 v[0:1], v[4:5], 0, s[20:21]
	v_mov_b32_e32 v18, s0
	global_store_dwordx2 v[0:1], v[20:21], off
	v_mov_b32_e32 v19, s1
	buffer_wbl2 sc0 sc1
	s_waitcnt vmcnt(0)
	global_atomic_cmpswap_x2 v[18:19], v3, v[18:21], s[18:19] offset:24 sc0 sc1
	s_waitcnt vmcnt(0)
	v_cmp_ne_u64_e32 vcc, v[18:19], v[20:21]
	s_and_b64 exec, exec, vcc
	s_cbranch_execz .LBB3_196
; %bb.194:                              ;   in Loop: Header=BB3_3 Depth=1
	s_mov_b64 s[20:21], 0
.LBB3_195:                              ;   Parent Loop BB3_3 Depth=1
                                        ; =>  This Inner Loop Header: Depth=2
	s_sleep 1
	global_store_dwordx2 v[0:1], v[18:19], off
	v_mov_b32_e32 v16, s0
	v_mov_b32_e32 v17, s1
	buffer_wbl2 sc0 sc1
	s_waitcnt vmcnt(0)
	global_atomic_cmpswap_x2 v[4:5], v3, v[16:19], s[18:19] offset:24 sc0 sc1
	s_waitcnt vmcnt(0)
	v_cmp_eq_u64_e32 vcc, v[4:5], v[18:19]
	s_or_b64 s[20:21], vcc, s[20:21]
	v_mov_b64_e32 v[18:19], v[4:5]
	s_andn2_b64 exec, exec, s[20:21]
	s_cbranch_execnz .LBB3_195
.LBB3_196:                              ;   in Loop: Header=BB3_3 Depth=1
	s_or_b64 exec, exec, s[10:11]
	v_readfirstlane_b32 s0, v44
	v_mov_b64_e32 v[0:1], 0
	s_nop 0
	v_cmp_eq_u32_e64 s[0:1], s0, v44
	s_and_saveexec_b64 s[10:11], s[0:1]
	s_cbranch_execz .LBB3_202
; %bb.197:                              ;   in Loop: Header=BB3_3 Depth=1
	global_load_dwordx2 v[18:19], v3, s[18:19] offset:24 sc0 sc1
	s_waitcnt vmcnt(0)
	buffer_inv sc0 sc1
	global_load_dwordx2 v[0:1], v3, s[18:19] offset:40
	global_load_dwordx2 v[4:5], v3, s[18:19]
	s_waitcnt vmcnt(1)
	v_and_b32_e32 v0, v0, v18
	v_and_b32_e32 v1, v1, v19
	v_mul_lo_u32 v1, v1, 24
	v_mul_hi_u32 v2, v0, 24
	v_add_u32_e32 v1, v2, v1
	v_mul_lo_u32 v0, v0, 24
	s_waitcnt vmcnt(0)
	v_lshl_add_u64 v[0:1], v[4:5], 0, v[0:1]
	global_load_dwordx2 v[16:17], v[0:1], off sc0 sc1
	s_waitcnt vmcnt(0)
	global_atomic_cmpswap_x2 v[0:1], v3, v[16:19], s[18:19] offset:24 sc0 sc1
	s_waitcnt vmcnt(0)
	buffer_inv sc0 sc1
	v_cmp_ne_u64_e32 vcc, v[0:1], v[18:19]
	s_and_saveexec_b64 s[20:21], vcc
	s_cbranch_execz .LBB3_201
; %bb.198:                              ;   in Loop: Header=BB3_3 Depth=1
	s_mov_b64 s[22:23], 0
.LBB3_199:                              ;   Parent Loop BB3_3 Depth=1
                                        ; =>  This Inner Loop Header: Depth=2
	s_sleep 1
	global_load_dwordx2 v[4:5], v3, s[18:19] offset:40
	global_load_dwordx2 v[16:17], v3, s[18:19]
	v_mov_b64_e32 v[18:19], v[0:1]
	s_waitcnt vmcnt(1)
	v_and_b32_e32 v0, v4, v18
	s_waitcnt vmcnt(0)
	v_mad_u64_u32 v[0:1], s[24:25], v0, 24, v[16:17]
	v_and_b32_e32 v5, v5, v19
	v_mov_b32_e32 v2, v1
	v_mad_u64_u32 v[4:5], s[24:25], v5, 24, v[2:3]
	v_mov_b32_e32 v1, v4
	global_load_dwordx2 v[16:17], v[0:1], off sc0 sc1
	s_waitcnt vmcnt(0)
	global_atomic_cmpswap_x2 v[0:1], v3, v[16:19], s[18:19] offset:24 sc0 sc1
	s_waitcnt vmcnt(0)
	buffer_inv sc0 sc1
	v_cmp_eq_u64_e32 vcc, v[0:1], v[18:19]
	s_or_b64 s[22:23], vcc, s[22:23]
	s_andn2_b64 exec, exec, s[22:23]
	s_cbranch_execnz .LBB3_199
; %bb.200:                              ;   in Loop: Header=BB3_3 Depth=1
	s_or_b64 exec, exec, s[22:23]
.LBB3_201:                              ;   in Loop: Header=BB3_3 Depth=1
	s_or_b64 exec, exec, s[20:21]
.LBB3_202:                              ;   in Loop: Header=BB3_3 Depth=1
	s_or_b64 exec, exec, s[10:11]
	global_load_dwordx2 v[4:5], v3, s[18:19] offset:40
	global_load_dwordx4 v[16:19], v3, s[18:19]
	v_readfirstlane_b32 s21, v1
	v_readfirstlane_b32 s20, v0
	s_mov_b64 s[10:11], exec
	s_waitcnt vmcnt(1)
	v_readfirstlane_b32 s22, v4
	v_readfirstlane_b32 s23, v5
	s_and_b64 s[22:23], s[22:23], s[20:21]
	s_mul_i32 s9, s23, 24
	s_mul_hi_u32 s24, s22, 24
	s_add_i32 s25, s24, s9
	s_mul_i32 s24, s22, 24
	s_waitcnt vmcnt(0)
	v_lshl_add_u64 v[0:1], v[16:17], 0, s[24:25]
	s_and_saveexec_b64 s[24:25], s[0:1]
	s_cbranch_execz .LBB3_204
; %bb.203:                              ;   in Loop: Header=BB3_3 Depth=1
	v_mov_b64_e32 v[4:5], s[10:11]
	global_store_dwordx4 v[0:1], v[4:7], off offset:8
.LBB3_204:                              ;   in Loop: Header=BB3_3 Depth=1
	s_or_b64 exec, exec, s[24:25]
	s_lshl_b64 s[10:11], s[22:23], 12
	v_lshl_add_u64 v[4:5], v[18:19], 0, s[10:11]
	v_and_or_b32 v12, v12, s36, 34
	v_readfirstlane_b32 s22, v4
	v_readfirstlane_b32 s23, v5
	s_mov_b32 s10, s8
	s_mov_b32 s11, s8
	;; [unrolled: 1-line block ×3, first 2 shown]
	s_nop 1
	global_store_dwordx4 v42, v[12:15], s[22:23]
	s_nop 1
	v_mov_b64_e32 v[14:15], s[10:11]
	v_mov_b64_e32 v[12:13], s[8:9]
	global_store_dwordx4 v42, v[12:15], s[22:23] offset:16
	global_store_dwordx4 v42, v[12:15], s[22:23] offset:32
	;; [unrolled: 1-line block ×3, first 2 shown]
	s_and_saveexec_b64 s[10:11], s[0:1]
	s_cbranch_execz .LBB3_212
; %bb.205:                              ;   in Loop: Header=BB3_3 Depth=1
	global_load_dwordx2 v[20:21], v3, s[18:19] offset:32 sc0 sc1
	global_load_dwordx2 v[4:5], v3, s[18:19] offset:40
	v_mov_b32_e32 v18, s20
	v_mov_b32_e32 v19, s21
	s_waitcnt vmcnt(0)
	v_readfirstlane_b32 s22, v4
	v_readfirstlane_b32 s23, v5
	s_and_b64 s[22:23], s[22:23], s[20:21]
	s_mul_i32 s9, s23, 24
	s_mul_hi_u32 s23, s22, 24
	s_mul_i32 s22, s22, 24
	s_add_i32 s23, s23, s9
	v_lshl_add_u64 v[4:5], v[16:17], 0, s[22:23]
	global_store_dwordx2 v[4:5], v[20:21], off
	buffer_wbl2 sc0 sc1
	s_waitcnt vmcnt(0)
	global_atomic_cmpswap_x2 v[14:15], v3, v[18:21], s[18:19] offset:32 sc0 sc1
	s_waitcnt vmcnt(0)
	v_cmp_ne_u64_e32 vcc, v[14:15], v[20:21]
	s_and_saveexec_b64 s[22:23], vcc
	s_cbranch_execz .LBB3_208
; %bb.206:                              ;   in Loop: Header=BB3_3 Depth=1
	s_mov_b64 s[24:25], 0
.LBB3_207:                              ;   Parent Loop BB3_3 Depth=1
                                        ; =>  This Inner Loop Header: Depth=2
	s_sleep 1
	global_store_dwordx2 v[4:5], v[14:15], off
	v_mov_b32_e32 v12, s20
	v_mov_b32_e32 v13, s21
	buffer_wbl2 sc0 sc1
	s_waitcnt vmcnt(0)
	global_atomic_cmpswap_x2 v[12:13], v3, v[12:15], s[18:19] offset:32 sc0 sc1
	s_waitcnt vmcnt(0)
	v_cmp_eq_u64_e32 vcc, v[12:13], v[14:15]
	s_or_b64 s[24:25], vcc, s[24:25]
	v_mov_b64_e32 v[14:15], v[12:13]
	s_andn2_b64 exec, exec, s[24:25]
	s_cbranch_execnz .LBB3_207
.LBB3_208:                              ;   in Loop: Header=BB3_3 Depth=1
	s_or_b64 exec, exec, s[22:23]
	global_load_dwordx2 v[4:5], v3, s[18:19] offset:16
	s_mov_b64 s[24:25], exec
	v_mbcnt_lo_u32_b32 v2, s24, 0
	v_mbcnt_hi_u32_b32 v2, s25, v2
	v_cmp_eq_u32_e32 vcc, 0, v2
	s_and_saveexec_b64 s[22:23], vcc
	s_cbranch_execz .LBB3_210
; %bb.209:                              ;   in Loop: Header=BB3_3 Depth=1
	s_bcnt1_i32_b64 s9, s[24:25]
	v_mov_b32_e32 v2, s9
	buffer_wbl2 sc0 sc1
	s_waitcnt vmcnt(0)
	global_atomic_add_x2 v[4:5], v[2:3], off offset:8 sc1
.LBB3_210:                              ;   in Loop: Header=BB3_3 Depth=1
	s_or_b64 exec, exec, s[22:23]
	s_waitcnt vmcnt(0)
	global_load_dwordx2 v[12:13], v[4:5], off offset:16
	s_waitcnt vmcnt(0)
	v_cmp_eq_u64_e32 vcc, 0, v[12:13]
	s_cbranch_vccnz .LBB3_212
; %bb.211:                              ;   in Loop: Header=BB3_3 Depth=1
	global_load_dword v2, v[4:5], off offset:24
	s_waitcnt vmcnt(0)
	v_readfirstlane_b32 s9, v2
	s_and_b32 m0, s9, 0xffffff
	buffer_wbl2 sc0 sc1
	global_store_dwordx2 v[12:13], v[2:3], off sc0 sc1
	s_sendmsg sendmsg(MSG_INTERRUPT)
.LBB3_212:                              ;   in Loop: Header=BB3_3 Depth=1
	s_or_b64 exec, exec, s[10:11]
	s_branch .LBB3_216
.LBB3_213:                              ;   in Loop: Header=BB3_216 Depth=2
	s_or_b64 exec, exec, s[10:11]
	v_readfirstlane_b32 s9, v2
	s_cmp_eq_u32 s9, 0
	s_cbranch_scc1 .LBB3_215
; %bb.214:                              ;   in Loop: Header=BB3_216 Depth=2
	s_sleep 1
	s_cbranch_execnz .LBB3_216
	s_branch .LBB3_218
.LBB3_215:                              ;   in Loop: Header=BB3_3 Depth=1
	s_branch .LBB3_218
.LBB3_216:                              ;   Parent Loop BB3_3 Depth=1
                                        ; =>  This Inner Loop Header: Depth=2
	v_mov_b32_e32 v2, 1
	s_and_saveexec_b64 s[10:11], s[0:1]
	s_cbranch_execz .LBB3_213
; %bb.217:                              ;   in Loop: Header=BB3_216 Depth=2
	global_load_dword v2, v[0:1], off offset:20 sc0 sc1
	s_waitcnt vmcnt(0)
	buffer_inv sc0 sc1
	v_and_b32_e32 v2, 1, v2
	s_branch .LBB3_213
.LBB3_218:                              ;   in Loop: Header=BB3_3 Depth=1
	s_and_b64 exec, exec, s[0:1]
	s_cbranch_execz .LBB3_2
; %bb.219:                              ;   in Loop: Header=BB3_3 Depth=1
	global_load_dwordx2 v[0:1], v3, s[18:19] offset:40
	global_load_dwordx2 v[16:17], v3, s[18:19] offset:24 sc0 sc1
	global_load_dwordx2 v[4:5], v3, s[18:19]
	s_waitcnt vmcnt(2)
	v_readfirstlane_b32 s10, v0
	v_readfirstlane_b32 s11, v1
	s_add_u32 s9, s10, 1
	s_addc_u32 s22, s11, 0
	s_add_u32 s0, s9, s20
	s_addc_u32 s1, s22, s21
	s_cmp_eq_u64 s[0:1], 0
	s_cselect_b32 s1, s22, s1
	s_cselect_b32 s0, s9, s0
	s_and_b64 s[10:11], s[0:1], s[10:11]
	s_mul_i32 s9, s11, 24
	s_mul_hi_u32 s11, s10, 24
	s_mul_i32 s10, s10, 24
	s_add_i32 s11, s11, s9
	s_waitcnt vmcnt(0)
	v_lshl_add_u64 v[0:1], v[4:5], 0, s[10:11]
	v_mov_b32_e32 v14, s0
	global_store_dwordx2 v[0:1], v[16:17], off
	v_mov_b32_e32 v15, s1
	buffer_wbl2 sc0 sc1
	s_waitcnt vmcnt(0)
	global_atomic_cmpswap_x2 v[14:15], v3, v[14:17], s[18:19] offset:24 sc0 sc1
	s_waitcnt vmcnt(0)
	v_cmp_ne_u64_e32 vcc, v[14:15], v[16:17]
	s_and_b64 exec, exec, vcc
	s_cbranch_execz .LBB3_2
; %bb.220:                              ;   in Loop: Header=BB3_3 Depth=1
	s_mov_b64 s[10:11], 0
.LBB3_221:                              ;   Parent Loop BB3_3 Depth=1
                                        ; =>  This Inner Loop Header: Depth=2
	s_sleep 1
	global_store_dwordx2 v[0:1], v[14:15], off
	v_mov_b32_e32 v12, s0
	v_mov_b32_e32 v13, s1
	buffer_wbl2 sc0 sc1
	s_waitcnt vmcnt(0)
	global_atomic_cmpswap_x2 v[4:5], v3, v[12:15], s[18:19] offset:24 sc0 sc1
	s_waitcnt vmcnt(0)
	v_cmp_eq_u64_e32 vcc, v[4:5], v[14:15]
	s_or_b64 s[10:11], vcc, s[10:11]
	v_mov_b64_e32 v[14:15], v[4:5]
	s_andn2_b64 exec, exec, s[10:11]
	s_cbranch_execnz .LBB3_221
	s_branch .LBB3_2
.LBB3_222:
	s_endpgm
	.section	.rodata,"a",@progbits
	.p2align	6, 0x0
	.amdhsa_kernel _Z10vec_verifyIdEvPT_S0_i
		.amdhsa_group_segment_fixed_size 0
		.amdhsa_private_segment_fixed_size 0
		.amdhsa_kernarg_size 280
		.amdhsa_user_sgpr_count 2
		.amdhsa_user_sgpr_dispatch_ptr 0
		.amdhsa_user_sgpr_queue_ptr 0
		.amdhsa_user_sgpr_kernarg_segment_ptr 1
		.amdhsa_user_sgpr_dispatch_id 0
		.amdhsa_user_sgpr_kernarg_preload_length 0
		.amdhsa_user_sgpr_kernarg_preload_offset 0
		.amdhsa_user_sgpr_private_segment_size 0
		.amdhsa_uses_dynamic_stack 0
		.amdhsa_enable_private_segment 0
		.amdhsa_system_sgpr_workgroup_id_x 1
		.amdhsa_system_sgpr_workgroup_id_y 0
		.amdhsa_system_sgpr_workgroup_id_z 0
		.amdhsa_system_sgpr_workgroup_info 0
		.amdhsa_system_vgpr_workitem_id 0
		.amdhsa_next_free_vgpr 45
		.amdhsa_next_free_sgpr 37
		.amdhsa_accum_offset 48
		.amdhsa_reserve_vcc 1
		.amdhsa_float_round_mode_32 0
		.amdhsa_float_round_mode_16_64 0
		.amdhsa_float_denorm_mode_32 3
		.amdhsa_float_denorm_mode_16_64 3
		.amdhsa_dx10_clamp 1
		.amdhsa_ieee_mode 1
		.amdhsa_fp16_overflow 0
		.amdhsa_tg_split 0
		.amdhsa_exception_fp_ieee_invalid_op 0
		.amdhsa_exception_fp_denorm_src 0
		.amdhsa_exception_fp_ieee_div_zero 0
		.amdhsa_exception_fp_ieee_overflow 0
		.amdhsa_exception_fp_ieee_underflow 0
		.amdhsa_exception_fp_ieee_inexact 0
		.amdhsa_exception_int_div_zero 0
	.end_amdhsa_kernel
	.section	.text._Z10vec_verifyIdEvPT_S0_i,"axG",@progbits,_Z10vec_verifyIdEvPT_S0_i,comdat
.Lfunc_end3:
	.size	_Z10vec_verifyIdEvPT_S0_i, .Lfunc_end3-_Z10vec_verifyIdEvPT_S0_i
                                        ; -- End function
	.set _Z10vec_verifyIdEvPT_S0_i.num_vgpr, 45
	.set _Z10vec_verifyIdEvPT_S0_i.num_agpr, 0
	.set _Z10vec_verifyIdEvPT_S0_i.numbered_sgpr, 37
	.set _Z10vec_verifyIdEvPT_S0_i.num_named_barrier, 0
	.set _Z10vec_verifyIdEvPT_S0_i.private_seg_size, 0
	.set _Z10vec_verifyIdEvPT_S0_i.uses_vcc, 1
	.set _Z10vec_verifyIdEvPT_S0_i.uses_flat_scratch, 0
	.set _Z10vec_verifyIdEvPT_S0_i.has_dyn_sized_stack, 0
	.set _Z10vec_verifyIdEvPT_S0_i.has_recursion, 0
	.set _Z10vec_verifyIdEvPT_S0_i.has_indirect_call, 0
	.section	.AMDGPU.csdata,"",@progbits
; Kernel info:
; codeLenInByte = 8124
; TotalNumSgprs: 43
; NumVgprs: 45
; NumAgprs: 0
; TotalNumVgprs: 45
; ScratchSize: 0
; MemoryBound: 0
; FloatMode: 240
; IeeeMode: 1
; LDSByteSize: 0 bytes/workgroup (compile time only)
; SGPRBlocks: 5
; VGPRBlocks: 5
; NumSGPRsForWavesPerEU: 43
; NumVGPRsForWavesPerEU: 45
; AccumOffset: 48
; Occupancy: 8
; WaveLimiterHint : 1
; COMPUTE_PGM_RSRC2:SCRATCH_EN: 0
; COMPUTE_PGM_RSRC2:USER_SGPR: 2
; COMPUTE_PGM_RSRC2:TRAP_HANDLER: 0
; COMPUTE_PGM_RSRC2:TGID_X_EN: 1
; COMPUTE_PGM_RSRC2:TGID_Y_EN: 0
; COMPUTE_PGM_RSRC2:TGID_Z_EN: 0
; COMPUTE_PGM_RSRC2:TIDIG_COMP_CNT: 0
; COMPUTE_PGM_RSRC3_GFX90A:ACCUM_OFFSET: 11
; COMPUTE_PGM_RSRC3_GFX90A:TG_SPLIT: 0
	.section	.AMDGPU.gpr_maximums,"",@progbits
	.set amdgpu.max_num_vgpr, 0
	.set amdgpu.max_num_agpr, 0
	.set amdgpu.max_num_sgpr, 0
	.section	.AMDGPU.csdata,"",@progbits
	.type	.str,@object                    ; @.str
	.section	.rodata.str1.1,"aMS",@progbits,1
.str:
	.asciz	"failed at %d: val=%g, expected=%g\n"
	.size	.str, 35

	.type	.str.1,@object                  ; @.str.1
.str.1:
	.asciz	"failed at %d: val=%d, expected=%d\n"
	.size	.str.1, 35

	.type	__hip_cuid_7ca2e96a7d1a43b,@object ; @__hip_cuid_7ca2e96a7d1a43b
	.section	.bss,"aw",@nobits
	.globl	__hip_cuid_7ca2e96a7d1a43b
__hip_cuid_7ca2e96a7d1a43b:
	.byte	0                               ; 0x0
	.size	__hip_cuid_7ca2e96a7d1a43b, 1

	.ident	"AMD clang version 22.0.0git (https://github.com/RadeonOpenCompute/llvm-project roc-7.2.4 26084 f58b06dce1f9c15707c5f808fd002e18c2accf7e)"
	.section	".note.GNU-stack","",@progbits
	.addrsig
	.addrsig_sym __hip_cuid_7ca2e96a7d1a43b
	.amdgpu_metadata
---
amdhsa.kernels:
  - .agpr_count:     0
    .args:
      - .address_space:  global
        .offset:         0
        .size:           8
        .value_kind:     global_buffer
      - .offset:         8
        .size:           4
        .value_kind:     by_value
      - .offset:         12
        .size:           4
        .value_kind:     by_value
      - .offset:         16
        .size:           4
        .value_kind:     hidden_block_count_x
      - .offset:         20
        .size:           4
        .value_kind:     hidden_block_count_y
      - .offset:         24
        .size:           4
        .value_kind:     hidden_block_count_z
      - .offset:         28
        .size:           2
        .value_kind:     hidden_group_size_x
      - .offset:         30
        .size:           2
        .value_kind:     hidden_group_size_y
      - .offset:         32
        .size:           2
        .value_kind:     hidden_group_size_z
      - .offset:         34
        .size:           2
        .value_kind:     hidden_remainder_x
      - .offset:         36
        .size:           2
        .value_kind:     hidden_remainder_y
      - .offset:         38
        .size:           2
        .value_kind:     hidden_remainder_z
      - .offset:         56
        .size:           8
        .value_kind:     hidden_global_offset_x
      - .offset:         64
        .size:           8
        .value_kind:     hidden_global_offset_y
      - .offset:         72
        .size:           8
        .value_kind:     hidden_global_offset_z
      - .offset:         80
        .size:           2
        .value_kind:     hidden_grid_dims
    .group_segment_fixed_size: 0
    .kernarg_segment_align: 8
    .kernarg_segment_size: 272
    .language:       OpenCL C
    .language_version:
      - 2
      - 0
    .max_flat_workgroup_size: 1024
    .name:           _Z8vec_fillIiEvPT_S0_i
    .private_segment_fixed_size: 0
    .sgpr_count:     21
    .sgpr_spill_count: 0
    .symbol:         _Z8vec_fillIiEvPT_S0_i.kd
    .uniform_work_group_size: 1
    .uses_dynamic_stack: false
    .vgpr_count:     12
    .vgpr_spill_count: 0
    .wavefront_size: 64
  - .agpr_count:     0
    .args:
      - .address_space:  global
        .offset:         0
        .size:           8
        .value_kind:     global_buffer
      - .offset:         8
        .size:           4
        .value_kind:     by_value
      - .offset:         12
        .size:           4
        .value_kind:     by_value
      - .offset:         16
        .size:           4
        .value_kind:     hidden_block_count_x
      - .offset:         20
        .size:           4
        .value_kind:     hidden_block_count_y
      - .offset:         24
        .size:           4
        .value_kind:     hidden_block_count_z
      - .offset:         28
        .size:           2
        .value_kind:     hidden_group_size_x
      - .offset:         30
        .size:           2
        .value_kind:     hidden_group_size_y
      - .offset:         32
        .size:           2
        .value_kind:     hidden_group_size_z
      - .offset:         34
        .size:           2
        .value_kind:     hidden_remainder_x
      - .offset:         36
        .size:           2
        .value_kind:     hidden_remainder_y
      - .offset:         38
        .size:           2
        .value_kind:     hidden_remainder_z
      - .offset:         56
        .size:           8
        .value_kind:     hidden_global_offset_x
      - .offset:         64
        .size:           8
        .value_kind:     hidden_global_offset_y
      - .offset:         72
        .size:           8
        .value_kind:     hidden_global_offset_z
      - .offset:         80
        .size:           2
        .value_kind:     hidden_grid_dims
      - .offset:         96
        .size:           8
        .value_kind:     hidden_hostcall_buffer
    .group_segment_fixed_size: 0
    .kernarg_segment_align: 8
    .kernarg_segment_size: 272
    .language:       OpenCL C
    .language_version:
      - 2
      - 0
    .max_flat_workgroup_size: 1024
    .name:           _Z10vec_verifyIiEvPT_S0_i
    .private_segment_fixed_size: 0
    .sgpr_count:     42
    .sgpr_spill_count: 0
    .symbol:         _Z10vec_verifyIiEvPT_S0_i.kd
    .uniform_work_group_size: 1
    .uses_dynamic_stack: false
    .vgpr_count:     45
    .vgpr_spill_count: 0
    .wavefront_size: 64
  - .agpr_count:     0
    .args:
      - .address_space:  global
        .offset:         0
        .size:           8
        .value_kind:     global_buffer
      - .offset:         8
        .size:           8
        .value_kind:     by_value
      - .offset:         16
        .size:           4
        .value_kind:     by_value
      - .offset:         24
        .size:           4
        .value_kind:     hidden_block_count_x
      - .offset:         28
        .size:           4
        .value_kind:     hidden_block_count_y
      - .offset:         32
        .size:           4
        .value_kind:     hidden_block_count_z
      - .offset:         36
        .size:           2
        .value_kind:     hidden_group_size_x
      - .offset:         38
        .size:           2
        .value_kind:     hidden_group_size_y
      - .offset:         40
        .size:           2
        .value_kind:     hidden_group_size_z
      - .offset:         42
        .size:           2
        .value_kind:     hidden_remainder_x
      - .offset:         44
        .size:           2
        .value_kind:     hidden_remainder_y
      - .offset:         46
        .size:           2
        .value_kind:     hidden_remainder_z
      - .offset:         64
        .size:           8
        .value_kind:     hidden_global_offset_x
      - .offset:         72
        .size:           8
        .value_kind:     hidden_global_offset_y
      - .offset:         80
        .size:           8
        .value_kind:     hidden_global_offset_z
      - .offset:         88
        .size:           2
        .value_kind:     hidden_grid_dims
    .group_segment_fixed_size: 0
    .kernarg_segment_align: 8
    .kernarg_segment_size: 280
    .language:       OpenCL C
    .language_version:
      - 2
      - 0
    .max_flat_workgroup_size: 1024
    .name:           _Z8vec_fillIdEvPT_S0_i
    .private_segment_fixed_size: 0
    .sgpr_count:     17
    .sgpr_spill_count: 0
    .symbol:         _Z8vec_fillIdEvPT_S0_i.kd
    .uniform_work_group_size: 1
    .uses_dynamic_stack: false
    .vgpr_count:     6
    .vgpr_spill_count: 0
    .wavefront_size: 64
  - .agpr_count:     0
    .args:
      - .address_space:  global
        .offset:         0
        .size:           8
        .value_kind:     global_buffer
      - .offset:         8
        .size:           8
        .value_kind:     by_value
      - .offset:         16
        .size:           4
        .value_kind:     by_value
      - .offset:         24
        .size:           4
        .value_kind:     hidden_block_count_x
      - .offset:         28
        .size:           4
        .value_kind:     hidden_block_count_y
      - .offset:         32
        .size:           4
        .value_kind:     hidden_block_count_z
      - .offset:         36
        .size:           2
        .value_kind:     hidden_group_size_x
      - .offset:         38
        .size:           2
        .value_kind:     hidden_group_size_y
      - .offset:         40
        .size:           2
        .value_kind:     hidden_group_size_z
      - .offset:         42
        .size:           2
        .value_kind:     hidden_remainder_x
      - .offset:         44
        .size:           2
        .value_kind:     hidden_remainder_y
      - .offset:         46
        .size:           2
        .value_kind:     hidden_remainder_z
      - .offset:         64
        .size:           8
        .value_kind:     hidden_global_offset_x
      - .offset:         72
        .size:           8
        .value_kind:     hidden_global_offset_y
      - .offset:         80
        .size:           8
        .value_kind:     hidden_global_offset_z
      - .offset:         88
        .size:           2
        .value_kind:     hidden_grid_dims
      - .offset:         104
        .size:           8
        .value_kind:     hidden_hostcall_buffer
    .group_segment_fixed_size: 0
    .kernarg_segment_align: 8
    .kernarg_segment_size: 280
    .language:       OpenCL C
    .language_version:
      - 2
      - 0
    .max_flat_workgroup_size: 1024
    .name:           _Z10vec_verifyIdEvPT_S0_i
    .private_segment_fixed_size: 0
    .sgpr_count:     43
    .sgpr_spill_count: 0
    .symbol:         _Z10vec_verifyIdEvPT_S0_i.kd
    .uniform_work_group_size: 1
    .uses_dynamic_stack: false
    .vgpr_count:     45
    .vgpr_spill_count: 0
    .wavefront_size: 64
amdhsa.target:   amdgcn-amd-amdhsa--gfx950
amdhsa.version:
  - 1
  - 2
...

	.end_amdgpu_metadata
